;; amdgpu-corpus repo=ROCm/rocFFT kind=compiled arch=gfx1201 opt=O3
	.text
	.amdgcn_target "amdgcn-amd-amdhsa--gfx1201"
	.amdhsa_code_object_version 6
	.protected	bluestein_single_back_len2023_dim1_half_op_CI_CI ; -- Begin function bluestein_single_back_len2023_dim1_half_op_CI_CI
	.globl	bluestein_single_back_len2023_dim1_half_op_CI_CI
	.p2align	8
	.type	bluestein_single_back_len2023_dim1_half_op_CI_CI,@function
bluestein_single_back_len2023_dim1_half_op_CI_CI: ; @bluestein_single_back_len2023_dim1_half_op_CI_CI
; %bb.0:
	s_load_b128 s[16:19], s[0:1], 0x28
	v_mul_u32_u24_e32 v1, 0x227, v0
	s_mov_b32 s2, exec_lo
	v_mov_b32_e32 v29, 0
	s_delay_alu instid0(VALU_DEP_2) | instskip(NEXT) | instid1(VALU_DEP_1)
	v_lshrrev_b32_e32 v1, 16, v1
	v_add_nc_u32_e32 v28, ttmp9, v1
	s_wait_kmcnt 0x0
	s_delay_alu instid0(VALU_DEP_1)
	v_cmpx_gt_u64_e64 s[16:17], v[28:29]
	s_cbranch_execz .LBB0_10
; %bb.1:
	s_clause 0x1
	s_load_b128 s[4:7], s[0:1], 0x18
	s_load_b128 s[8:11], s[0:1], 0x0
	v_mul_lo_u16 v1, 0x77, v1
	s_delay_alu instid0(VALU_DEP_1) | instskip(NEXT) | instid1(VALU_DEP_1)
	v_sub_nc_u16 v26, v0, v1
	v_and_b32_e32 v76, 0xffff, v26
	s_wait_kmcnt 0x0
	s_load_b128 s[12:15], s[4:5], 0x0
	s_wait_kmcnt 0x0
	v_mad_co_u64_u32 v[0:1], null, s14, v28, 0
	v_mad_co_u64_u32 v[2:3], null, s12, v76, 0
	s_mul_u64 s[2:3], s[12:13], 0x1dc
	s_delay_alu instid0(VALU_DEP_1) | instskip(NEXT) | instid1(VALU_DEP_1)
	v_mad_co_u64_u32 v[4:5], null, s15, v28, v[1:2]
	v_mov_b32_e32 v1, v4
	s_delay_alu instid0(VALU_DEP_3)
	v_mad_co_u64_u32 v[5:6], null, s13, v76, v[3:4]
	v_lshlrev_b32_e32 v49, 2, v76
	s_clause 0x7
	global_load_b32 v81, v49, s[8:9]
	global_load_b32 v80, v49, s[8:9] offset:476
	global_load_b32 v78, v49, s[8:9] offset:952
	;; [unrolled: 1-line block ×7, first 2 shown]
	v_mov_b32_e32 v3, v5
	v_lshlrev_b64_e32 v[0:1], 2, v[0:1]
	s_clause 0x7
	global_load_b32 v65, v49, s[8:9] offset:3808
	global_load_b32 v63, v49, s[8:9] offset:4284
	;; [unrolled: 1-line block ×8, first 2 shown]
	v_add_nc_u32_e32 v21, 0xa00, v49
	v_add_nc_u32_e32 v14, 0xe00, v49
	v_lshlrev_b64_e32 v[2:3], 2, v[2:3]
	v_add_nc_u32_e32 v22, 0x1200, v49
	v_add_co_u32 v0, vcc_lo, s18, v0
	v_add_co_ci_u32_e32 v1, vcc_lo, s19, v1, vcc_lo
	v_add_nc_u32_e32 v16, 0x1600, v49
	s_delay_alu instid0(VALU_DEP_3) | instskip(SKIP_1) | instid1(VALU_DEP_3)
	v_add_co_u32 v0, vcc_lo, v0, v2
	s_wait_alu 0xfffd
	v_add_co_ci_u32_e32 v1, vcc_lo, v1, v3, vcc_lo
	v_add_nc_u32_e32 v23, 0x1800, v49
	s_delay_alu instid0(VALU_DEP_3) | instskip(SKIP_1) | instid1(VALU_DEP_3)
	v_add_co_u32 v2, vcc_lo, v0, s2
	s_wait_alu 0xfffd
	v_add_co_ci_u32_e32 v3, vcc_lo, s3, v1, vcc_lo
	global_load_b32 v4, v[0:1], off
	v_add_co_u32 v0, vcc_lo, v2, s2
	s_wait_alu 0xfffd
	v_add_co_ci_u32_e32 v1, vcc_lo, s3, v3, vcc_lo
	global_load_b32 v5, v[2:3], off
	global_load_b32 v50, v49, s[8:9] offset:7616
	global_load_b32 v6, v[0:1], off
	v_add_co_u32 v0, vcc_lo, v0, s2
	s_wait_alu 0xfffd
	v_add_co_ci_u32_e32 v1, vcc_lo, s3, v1, vcc_lo
	s_delay_alu instid0(VALU_DEP_2) | instskip(SKIP_1) | instid1(VALU_DEP_2)
	v_add_co_u32 v2, vcc_lo, v0, s2
	s_wait_alu 0xfffd
	v_add_co_ci_u32_e32 v3, vcc_lo, s3, v1, vcc_lo
	global_load_b32 v7, v[0:1], off
	v_add_co_u32 v0, vcc_lo, v2, s2
	s_wait_alu 0xfffd
	v_add_co_ci_u32_e32 v1, vcc_lo, s3, v3, vcc_lo
	global_load_b32 v8, v[2:3], off
	global_load_b32 v9, v[0:1], off
	v_add_co_u32 v0, vcc_lo, v0, s2
	s_wait_alu 0xfffd
	v_add_co_ci_u32_e32 v1, vcc_lo, s3, v1, vcc_lo
	s_delay_alu instid0(VALU_DEP_2) | instskip(SKIP_1) | instid1(VALU_DEP_2)
	v_add_co_u32 v2, vcc_lo, v0, s2
	s_wait_alu 0xfffd
	v_add_co_ci_u32_e32 v3, vcc_lo, s3, v1, vcc_lo
	global_load_b32 v10, v[0:1], off
	global_load_b32 v11, v[2:3], off
	v_add_co_u32 v0, vcc_lo, v2, s2
	s_wait_alu 0xfffd
	v_add_co_ci_u32_e32 v1, vcc_lo, s3, v3, vcc_lo
	s_delay_alu instid0(VALU_DEP_2) | instskip(SKIP_1) | instid1(VALU_DEP_2)
	v_add_co_u32 v2, vcc_lo, v0, s2
	s_wait_alu 0xfffd
	v_add_co_ci_u32_e32 v3, vcc_lo, s3, v1, vcc_lo
	global_load_b32 v12, v[0:1], off
	v_add_co_u32 v0, vcc_lo, v2, s2
	s_wait_alu 0xfffd
	v_add_co_ci_u32_e32 v1, vcc_lo, s3, v3, vcc_lo
	global_load_b32 v13, v[2:3], off
	global_load_b32 v15, v[0:1], off
	v_add_co_u32 v0, vcc_lo, v0, s2
	s_wait_alu 0xfffd
	v_add_co_ci_u32_e32 v1, vcc_lo, s3, v1, vcc_lo
	s_delay_alu instid0(VALU_DEP_2) | instskip(SKIP_1) | instid1(VALU_DEP_2)
	v_add_co_u32 v2, vcc_lo, v0, s2
	s_wait_alu 0xfffd
	v_add_co_ci_u32_e32 v3, vcc_lo, s3, v1, vcc_lo
	global_load_b32 v17, v[0:1], off
	v_add_co_u32 v0, vcc_lo, v2, s2
	s_wait_alu 0xfffd
	v_add_co_ci_u32_e32 v1, vcc_lo, s3, v3, vcc_lo
	global_load_b32 v18, v[2:3], off
	;; [unrolled: 4-line block ×5, first 2 shown]
	global_load_b32 v1, v[2:3], off
	v_add_nc_u32_e32 v2, 0x200, v49
	v_add_nc_u32_e32 v3, 0x600, v49
	s_load_b128 s[4:7], s[6:7], 0x0
	s_load_b64 s[2:3], s[0:1], 0x38
	v_cmp_gt_u16_e32 vcc_lo, 51, v26
	s_wait_loadcnt 0x21
	v_lshrrev_b32_e32 v27, 16, v81
	s_wait_loadcnt 0x20
	v_lshrrev_b32_e32 v46, 16, v80
	;; [unrolled: 2-line block ×17, first 2 shown]
	v_mul_f16_e32 v25, v27, v4
	s_wait_loadcnt 0x10
	v_lshrrev_b32_e32 v29, 16, v5
	s_delay_alu instid0(VALU_DEP_3)
	v_mul_f16_e32 v27, v27, v24
	v_mul_f16_e32 v30, v46, v5
	v_fma_f16 v24, v81, v24, -v25
	s_wait_loadcnt 0xe
	v_lshrrev_b32_e32 v25, 16, v6
	v_lshrrev_b32_e32 v32, 16, v50
	v_fmac_f16_e32 v27, v81, v4
	v_mul_f16_e32 v4, v46, v29
	v_fma_f16 v29, v80, v29, -v30
	v_mul_f16_e32 v30, v31, v6
	s_delay_alu instid0(VALU_DEP_4) | instskip(NEXT) | instid1(VALU_DEP_4)
	v_pack_b32_f16 v24, v27, v24
	v_fmac_f16_e32 v4, v80, v5
	v_mul_f16_e32 v5, v31, v25
	s_wait_loadcnt 0xd
	v_lshrrev_b32_e32 v27, 16, v7
	v_mul_f16_e32 v31, v45, v7
	v_fma_f16 v25, v78, v25, -v30
	v_pack_b32_f16 v4, v4, v29
	v_fmac_f16_e32 v5, v78, v6
	v_mul_f16_e32 v6, v45, v27
	s_wait_loadcnt 0xc
	v_lshrrev_b32_e32 v29, 16, v8
	v_fma_f16 v27, v75, v27, -v31
	v_mul_f16_e32 v30, v44, v8
	ds_store_2addr_b32 v49, v24, v4 offset1:119
	v_pack_b32_f16 v4, v5, v25
	v_fmac_f16_e32 v6, v75, v7
	v_mul_f16_e32 v5, v44, v29
	s_wait_loadcnt 0xb
	v_lshrrev_b32_e32 v7, 16, v9
	v_mul_f16_e32 v24, v43, v9
	v_fma_f16 v25, v73, v29, -v30
	v_pack_b32_f16 v6, v6, v27
	v_fmac_f16_e32 v5, v73, v8
	v_mul_f16_e32 v8, v43, v7
	v_fma_f16 v7, v71, v7, -v24
	s_wait_loadcnt 0xa
	v_lshrrev_b32_e32 v24, 16, v10
	v_mul_f16_e32 v27, v42, v10
	ds_store_2addr_b32 v2, v4, v6 offset0:110 offset1:229
	v_pack_b32_f16 v4, v5, v25
	v_fmac_f16_e32 v8, v71, v9
	v_mul_f16_e32 v5, v42, v24
	s_wait_loadcnt 0x9
	v_lshrrev_b32_e32 v6, 16, v11
	v_mul_f16_e32 v9, v41, v11
	v_fma_f16 v24, v69, v24, -v27
	v_pack_b32_f16 v7, v8, v7
	v_fmac_f16_e32 v5, v69, v10
	v_mul_f16_e32 v8, v41, v6
	v_fma_f16 v6, v67, v6, -v9
	s_wait_loadcnt 0x8
	v_lshrrev_b32_e32 v9, 16, v12
	v_mul_f16_e32 v10, v40, v12
	ds_store_2addr_b32 v3, v4, v7 offset0:92 offset1:211
	v_pack_b32_f16 v4, v5, v24
	v_fmac_f16_e32 v8, v67, v11
	v_mul_f16_e32 v5, v40, v9
	s_wait_loadcnt 0x7
	v_lshrrev_b32_e32 v7, 16, v13
	v_mul_f16_e32 v11, v39, v13
	v_fma_f16 v9, v65, v9, -v10
	v_pack_b32_f16 v6, v8, v6
	v_fmac_f16_e32 v5, v65, v12
	v_mul_f16_e32 v8, v39, v7
	s_wait_loadcnt 0x6
	v_lshrrev_b32_e32 v10, 16, v15
	v_fma_f16 v7, v63, v7, -v11
	v_mul_f16_e32 v11, v38, v15
	ds_store_2addr_b32 v21, v4, v6 offset0:74 offset1:193
	v_pack_b32_f16 v4, v5, v9
	v_fmac_f16_e32 v8, v63, v13
	v_mul_f16_e32 v5, v38, v10
	s_wait_loadcnt 0x5
	v_lshrrev_b32_e32 v6, 16, v17
	v_mul_f16_e32 v9, v37, v17
	v_fma_f16 v10, v61, v10, -v11
	v_pack_b32_f16 v7, v8, v7
	v_fmac_f16_e32 v5, v61, v15
	v_mul_f16_e32 v8, v37, v6
	v_fma_f16 v6, v60, v6, -v9
	s_wait_loadcnt 0x4
	v_lshrrev_b32_e32 v9, 16, v18
	v_mul_f16_e32 v11, v36, v18
	v_pack_b32_f16 v5, v5, v10
	v_fmac_f16_e32 v8, v60, v17
	s_wait_loadcnt 0x3
	v_lshrrev_b32_e32 v10, 16, v19
	v_mul_f16_e32 v12, v36, v9
	v_fma_f16 v9, v58, v9, -v11
	v_mul_f16_e32 v11, v35, v19
	v_pack_b32_f16 v6, v8, v6
	v_mul_f16_e32 v8, v35, v10
	s_wait_loadcnt 0x2
	v_lshrrev_b32_e32 v13, 16, v20
	s_wait_loadcnt 0x1
	v_lshrrev_b32_e32 v15, 16, v0
	v_fma_f16 v10, v56, v10, -v11
	v_mul_f16_e32 v11, v34, v20
	v_fmac_f16_e32 v12, v58, v18
	s_wait_loadcnt 0x0
	v_lshrrev_b32_e32 v18, 16, v1
	v_fmac_f16_e32 v8, v56, v19
	v_mul_f16_e32 v17, v34, v13
	v_fma_f16 v11, v54, v13, -v11
	v_mul_f16_e32 v13, v33, v0
	v_mul_f16_e32 v19, v33, v15
	;; [unrolled: 1-line block ×4, first 2 shown]
	v_fmac_f16_e32 v17, v54, v20
	v_fma_f16 v13, v51, v15, -v13
	v_fmac_f16_e32 v19, v51, v0
	v_fma_f16 v0, v50, v18, -v24
	v_fmac_f16_e32 v25, v50, v1
	v_pack_b32_f16 v1, v12, v9
	v_pack_b32_f16 v8, v8, v10
	;; [unrolled: 1-line block ×5, first 2 shown]
	ds_store_2addr_b32 v14, v4, v7 offset0:56 offset1:175
	ds_store_2addr_b32 v22, v5, v6 offset0:38 offset1:157
	;; [unrolled: 1-line block ×4, first 2 shown]
	ds_store_b32 v49, v0 offset:7616
	global_wb scope:SCOPE_SE
	s_wait_dscnt 0x0
	s_wait_kmcnt 0x0
	s_barrier_signal -1
	s_barrier_wait -1
	global_inv scope:SCOPE_SE
	ds_load_2addr_b32 v[8:9], v49 offset1:119
	ds_load_2addr_b32 v[12:13], v2 offset0:110 offset1:229
	ds_load_2addr_b32 v[10:11], v3 offset0:92 offset1:211
	;; [unrolled: 1-line block ×6, first 2 shown]
	ds_load_b32 v17, v49 offset:7616
	ds_load_2addr_b32 v[14:15], v14 offset0:56 offset1:175
	global_wb scope:SCOPE_SE
	s_wait_dscnt 0x0
	s_barrier_signal -1
	s_barrier_wait -1
	global_inv scope:SCOPE_SE
	v_lshrrev_b32_e32 v34, 16, v9
	v_lshrrev_b32_e32 v88, 16, v8
	v_add_f16_e32 v29, v9, v8
	v_lshrrev_b32_e32 v87, 16, v12
	v_lshrrev_b32_e32 v43, 16, v13
	v_lshrrev_b32_e32 v41, 16, v10
	v_lshrrev_b32_e32 v42, 16, v1
	v_add_f16_e32 v100, v34, v88
	v_lshrrev_b32_e32 v31, 16, v0
	v_add_f16_e32 v89, v29, v12
	v_lshrrev_b32_e32 v32, 16, v3
	v_add_f16_e32 v101, v42, v87
	v_sub_f16_e32 v102, v87, v42
	v_add_f16_e32 v87, v100, v87
	v_add_f16_e32 v46, v0, v13
	v_sub_f16_e32 v45, v13, v0
	v_add_f16_e32 v119, v31, v43
	v_sub_f16_e32 v120, v43, v31
	v_add_f16_e32 v13, v89, v13
	v_add_f16_e32 v43, v87, v43
	v_lshrrev_b32_e32 v40, 16, v11
	v_lshrrev_b32_e32 v33, 16, v2
	v_add_f16_e32 v25, v3, v10
	v_sub_f16_e32 v27, v10, v3
	v_add_f16_e32 v123, v32, v41
	v_sub_f16_e32 v124, v41, v32
	v_add_f16_e32 v10, v13, v10
	v_add_f16_e32 v41, v43, v41
	v_lshrrev_b32_e32 v39, 16, v6
	v_lshrrev_b32_e32 v36, 16, v5
	v_add_f16_e32 v47, v1, v12
	v_sub_f16_e32 v44, v12, v1
	v_add_f16_e32 v121, v33, v40
	v_sub_f16_e32 v122, v40, v33
	v_add_f16_e32 v10, v10, v11
	v_add_f16_e32 v40, v41, v40
	v_lshrrev_b32_e32 v38, 16, v7
	v_add_f16_e32 v21, v5, v6
	v_sub_f16_e32 v22, v6, v5
	v_mul_f16_e32 v103, 0xb964, v44
	v_mul_f16_e32 v104, 0xbbf7, v44
	v_mul_f16_e32 v105, 0xba62, v44
	v_mul_f16_e32 v106, 0xb1e1, v44
	v_mul_f16_e32 v107, 0x3836, v44
	v_mul_f16_e32 v108, 0x3bb2, v44
	v_mul_f16_e32 v109, 0x3b29, v44
	v_pack_b32_f16 v110, v44, v47
	v_mul_f16_e32 v111, 0xbb29, v45
	v_mul_f16_e32 v112, 0xba62, v45
	v_mul_f16_e32 v113, 0x31e1, v45
	v_mul_f16_e32 v114, 0x3bb2, v45
	v_mul_f16_e32 v115, 0x3964, v45
	v_mul_f16_e32 v116, 0xb5c8, v45
	v_mul_f16_e32 v117, 0xbbf7, v45
	v_pack_b32_f16 v118, v45, v46
	v_add_f16_e32 v44, v36, v39
	v_sub_f16_e32 v45, v39, v36
	v_add_f16_e32 v6, v10, v6
	v_add_f16_e32 v39, v40, v39
	;; [unrolled: 1-line block ×3, first 2 shown]
	v_sub_f16_e32 v35, v9, v17
	v_add_f16_e32 v9, v4, v7
	v_sub_f16_e32 v18, v7, v4
	v_lshrrev_b32_e32 v48, 16, v14
	v_add_f16_e32 v6, v6, v7
	v_add_f16_e32 v7, v39, v38
	v_lshrrev_b32_e32 v86, 16, v15
	v_lshrrev_b32_e32 v37, 16, v4
	;; [unrolled: 1-line block ×3, first 2 shown]
	v_add_f16_e32 v6, v6, v14
	v_add_f16_e32 v7, v7, v48
	;; [unrolled: 1-line block ×3, first 2 shown]
	v_sub_f16_e32 v24, v11, v2
	v_sub_f16_e32 v90, v34, v30
	v_add_f16_e32 v6, v6, v15
	v_add_f16_e32 v7, v7, v86
	;; [unrolled: 1-line block ×3, first 2 shown]
	v_pack_b32_f16 v92, v35, v85
	v_mul_f16_e32 v93, 0xb5c8, v35
	v_add_f16_e32 v4, v6, v4
	v_add_f16_e32 v6, v7, v37
	v_mul_f16_e32 v94, 0xb964, v35
	v_mul_f16_e32 v95, 0xbb29, v35
	v_mul_f16_e32 v96, 0xbbf7, v35
	v_add_f16_e32 v4, v4, v5
	v_add_f16_e32 v5, v6, v36
	v_mul_f16_e32 v97, 0xbbb2, v35
	v_mul_f16_e32 v98, 0xba62, v35
	v_mul_f16_e32 v99, 0xb836, v35
	v_add_f16_e32 v2, v4, v2
	v_add_f16_e32 v4, v5, v33
	v_mul_f16_e32 v89, 0xb5c8, v90
	v_mul_f16_e32 v127, 0xb964, v90
	v_mul_f16_e64 v128, 0xbb29, v90
	v_add_f16_e32 v2, v2, v3
	v_add_f16_e32 v3, v4, v32
	v_mul_f16_e64 v129, 0xbbf7, v90
	v_mul_f16_e64 v130, 0xbbb2, v90
	;; [unrolled: 1-line block ×4, first 2 shown]
	v_pack_b32_f16 v90, v91, v90
	v_pk_mul_f16 v92, 0xbbddb1e1, v92
	v_fma_f16 v133, 0x3b76, v91, v93
	v_fma_f16 v93, v91, 0x3b76, -v93
	v_fma_f16 v134, 0x39e9, v91, v94
	v_fma_f16 v94, v91, 0x39e9, -v94
	v_fma_f16 v135, 0x3722, v91, v95
	v_fma_f16 v95, v91, 0x3722, -v95
	v_fma_f16 v136, 0x2de8, v91, v96
	v_fma_f16 v96, v91, 0x2de8, -v96
	v_fma_f16 v137, 0xb461, v91, v97
	v_fma_f16 v97, v91, 0xb461, -v97
	v_fma_f16 v138, 0xb8d2, v91, v98
	v_fma_f16 v98, v91, 0xb8d2, -v98
	v_fma_f16 v139, 0xbacd, v91, v99
	v_fma_f16 v91, v91, 0xbacd, -v99
	v_fmamk_f16 v99, v101, 0x39e9, v103
	v_fma_f16 v100, v101, 0x39e9, -v103
	v_fmamk_f16 v103, v101, 0x2de8, v104
	v_fma_f16 v104, v101, 0x2de8, -v104
	v_fma_f16 v140, 0xb8d2, v101, v105
	v_fma_f16 v105, v101, 0xb8d2, -v105
	v_fma_f16 v141, 0xbbdd, v101, v106
	;; [unrolled: 2-line block ×5, first 2 shown]
	v_fma_f16 v109, v101, 0x3722, -v109
	v_pack_b32_f16 v101, v101, v102
	v_mul_f16_e64 v145, 0xb964, v102
	v_mul_f16_e64 v146, 0xbbf7, v102
	;; [unrolled: 1-line block ×6, first 2 shown]
	v_mul_f16_e32 v102, 0x3b29, v102
	v_fma_f16 v151, 0x3722, v119, v111
	v_fma_f16 v111, v119, 0x3722, -v111
	v_fma_f16 v152, 0xb8d2, v119, v112
	v_fma_f16 v112, v119, 0xb8d2, -v112
	;; [unrolled: 2-line block ×7, first 2 shown]
	v_pack_b32_f16 v119, v119, v120
	v_mul_f16_e64 v158, 0xbb29, v120
	v_mul_f16_e64 v159, 0xba62, v120
	;; [unrolled: 1-line block ×6, first 2 shown]
	v_mul_f16_e32 v120, 0xbbf7, v120
	v_add_f16_e32 v0, v2, v0
	v_add_f16_e32 v2, v3, v31
	v_fma_f16 v13, v85, 0x3b76, -v89
	v_fmac_f16_e32 v89, 0x3b76, v85
	v_fma_f16 v168, v85, 0x39e9, -v127
	v_fmac_f16_e32 v127, 0x39e9, v85
	v_fma_f16 v169, v85, 0x3722, -v128
	v_fmac_f16_e64 v128, 0x3722, v85
	v_fma_f16 v170, v85, 0x2de8, -v129
	v_fmac_f16_e64 v129, 0x2de8, v85
	;; [unrolled: 2-line block ×5, first 2 shown]
	v_pk_fma_f16 v85, 0xb1e1bbdd, v90, v92 neg_lo:[0,1,0] neg_hi:[0,1,0]
	v_pk_fma_f16 v174, 0xb1e1bbdd, v90, v92
	v_pk_fma_f16 v90, 0xb1e1bbdd, v90, v92 neg_lo:[0,0,1] neg_hi:[0,0,1]
	v_fma_f16 v92, v47, 0x39e9, -v145
	v_fmac_f16_e64 v145, 0x39e9, v47
	v_fma_f16 v175, v47, 0x2de8, -v146
	v_fmac_f16_e64 v146, 0x2de8, v47
	;; [unrolled: 2-line block ×6, first 2 shown]
	v_fma_f16 v180, v47, 0x3722, -v102
	v_fmac_f16_e32 v102, 0x3722, v47
	v_fma_f16 v47, v46, 0x3722, -v158
	v_fmac_f16_e64 v158, 0x3722, v46
	v_fma_f16 v181, v46, 0xb8d2, -v159
	v_fmac_f16_e64 v159, 0xb8d2, v46
	;; [unrolled: 2-line block ×6, first 2 shown]
	v_fma_f16 v186, v46, 0x2de8, -v120
	v_fmac_f16_e32 v120, 0x2de8, v46
	v_add_f16_e64 v46, v133, v88
	v_add_f16_e32 v87, v93, v88
	v_add_f16_e32 v0, v0, v1
	;; [unrolled: 1-line block ×3, first 2 shown]
	v_mul_f16_e32 v125, 0xbbf7, v27
	v_pk_mul_f16 v110, 0x3b7635c8, v110
	v_add_f16_e64 v93, v134, v88
	v_add_f16_e32 v94, v94, v88
	v_add_f16_e32 v11, v13, v8
	;; [unrolled: 1-line block ×6, first 2 shown]
	v_mul_f16_e32 v126, 0xb1e1, v27
	v_pk_mul_f16 v118, 0xbacdb836, v118
	v_fma_f16 v165, 0x2de8, v123, v125
	v_fma_f16 v125, v123, 0x2de8, -v125
	v_add_f16_e64 v133, v135, v88
	v_add_f16_e32 v95, v95, v88
	v_add_f16_e64 v134, v136, v88
	v_add_f16_e32 v96, v96, v88
	;; [unrolled: 2-line block ×5, first 2 shown]
	v_pk_fma_f16 v91, 0x35c83b76, v101, v110 neg_lo:[0,1,0] neg_hi:[0,1,0]
	v_add_f16_e32 v13, v89, v8
	v_add_f16_e64 v89, v168, v8
	v_add_f16_e32 v127, v127, v8
	v_add_f16_e64 v168, v169, v8
	v_add_f16_e64 v128, v128, v8
	;; [unrolled: 1-line block ×10, first 2 shown]
	v_pk_add_f16 v85, v85, v8 op_sel:[0,1] op_sel_hi:[1,0]
	v_pk_add_f16 v173, v174, v8 op_sel:[0,1] op_sel_hi:[1,0]
	;; [unrolled: 1-line block ×3, first 2 shown]
	v_add_f16_e32 v90, v103, v93
	v_add_f16_e32 v93, v104, v94
	;; [unrolled: 1-line block ×3, first 2 shown]
	v_add_f16_e64 v40, v151, v46
	v_add_f16_e32 v46, v111, v87
	v_and_b32_e32 v0, 0xffff, v0
	v_lshlrev_b32_e32 v1, 16, v1
	v_pk_fma_f16 v138, 0x35c83b76, v101, v110
	v_pk_fma_f16 v101, 0x35c83b76, v101, v110 neg_lo:[0,0,1] neg_hi:[0,0,1]
	v_pk_fma_f16 v110, 0xb836bacd, v119, v118 neg_lo:[0,1,0] neg_hi:[0,1,0]
	v_add_f16_e64 v94, v140, v133
	v_add_f16_e64 v11, v145, v13
	;; [unrolled: 1-line block ×5, first 2 shown]
	v_pk_add_f16 v85, v91, v85
	v_add_f16_e32 v39, v112, v93
	v_add_f16_e32 v6, v47, v10
	v_add_f16_e64 v30, v165, v40
	v_add_f16_e32 v40, v125, v46
	v_or_b32_e32 v0, v1, v0
	v_mul_f16_e32 v1, 0x3bb2, v124
	v_fma_f16 v46, v123, 0xbbdd, -v126
	v_mul_f16_e32 v47, 0x3bb2, v27
	v_add_f16_e32 v95, v105, v95
	v_add_f16_e64 v105, v177, v169
	v_add_f16_e64 v87, v153, v94
	;; [unrolled: 1-line block ×6, first 2 shown]
	v_pk_add_f16 v42, v110, v85
	v_fma_f16 v85, v25, 0xb461, -v1
	v_add_f16_e32 v39, v46, v39
	v_fmamk_f16 v46, v123, 0xb461, v47
	v_mul_f16_e32 v89, 0x35c8, v124
	v_fmac_f16_e32 v1, 0xb461, v25
	v_add_f16_e32 v19, v15, v14
	v_sub_f16_e32 v20, v14, v15
	v_pk_fma_f16 v139, 0xb836bacd, v119, v118
	v_add_f16_e64 v99, v141, v134
	v_add_f16_e32 v96, v106, v96
	v_add_f16_e32 v97, v107, v97
	v_add_f16_e64 v107, v178, v170
	v_pk_add_f16 v91, v138, v173
	v_add_f16_e32 v14, v113, v95
	v_add_f16_e64 v4, v183, v105
	v_add_f16_e32 v13, v85, v13
	v_fma_f16 v47, v123, 0xb461, -v47
	v_add_f16_e32 v46, v46, v87
	v_fma_f16 v85, v25, 0x3b76, -v89
	v_mul_f16_e32 v87, 0x35c8, v27
	v_add_f16_e32 v1, v1, v33
	v_mul_f16_e32 v33, 0xbb29, v124
	v_add_f16_e32 v12, v86, v48
	v_sub_f16_e32 v29, v48, v86
	v_add_f16_e32 v34, v37, v38
	v_sub_f16_e32 v35, v38, v37
	v_add_f16_e64 v100, v142, v135
	v_add_f16_e64 v106, v148, v129
	;; [unrolled: 1-line block ×4, first 2 shown]
	v_add_f16_e32 v90, v114, v96
	v_add_f16_e64 v36, v184, v107
	v_pk_add_f16 v17, v139, v91
	v_add_f16_e32 v14, v47, v14
	v_add_f16_e32 v4, v85, v4
	v_fmamk_f16 v47, v123, 0x3b76, v87
	v_fma_f16 v85, v123, 0x3b76, -v87
	v_fma_f16 v87, v25, 0x3722, -v33
	v_mul_f16_e32 v91, 0xbb29, v27
	v_add_f16_e32 v98, v108, v98
	v_add_f16_e32 v88, v109, v88
	v_add_f16_e64 v43, v146, v127
	v_add_f16_e64 v108, v149, v130
	;; [unrolled: 1-line block ×6, first 2 shown]
	v_fmac_f16_e32 v89, 0x3b76, v25
	v_add_f16_e32 v47, v47, v48
	v_add_f16_e32 v48, v85, v90
	v_add_f16_e32 v36, v87, v36
	v_fmamk_f16 v85, v123, 0x3722, v91
	v_mul_f16_e32 v87, 0xb836, v124
	v_add_f16_e64 v5, v159, v43
	v_add_f16_e64 v3, v162, v108
	;; [unrolled: 1-line block ×4, first 2 shown]
	v_add_f16_e32 v32, v89, v32
	v_fmac_f16_e32 v33, 0x3722, v25
	v_mul_f16_e32 v89, 0xb836, v27
	v_add_f16_e32 v15, v85, v15
	v_fma_f16 v85, v25, 0xbacd, -v87
	v_fmac_f16_e32 v87, 0xbacd, v25
	v_mul_f16_e64 v164, 0xbbf7, v124
	v_mul_f16_e64 v166, 0xb1e1, v124
	v_add_f16_e64 v104, v144, v137
	v_add_f16_e64 v41, v180, v172
	;; [unrolled: 1-line block ×3, first 2 shown]
	v_add_f16_e32 v86, v115, v97
	v_add_f16_e32 v7, v116, v98
	v_fma_f16 v90, v123, 0x3722, -v91
	v_add_f16_e32 v3, v33, v3
	v_fmamk_f16 v33, v123, 0xbacd, v89
	v_add_f16_e32 v31, v85, v31
	v_fma_f16 v85, v123, 0xbacd, -v89
	v_mul_f16_e32 v89, 0x3a62, v124
	v_add_f16_e32 v43, v87, v43
	v_mul_f16_e32 v87, 0x3a62, v27
	v_pack_b32_f16 v27, v27, v25
	v_pk_fma_f16 v118, 0xb836bacd, v119, v118 neg_lo:[0,0,1] neg_hi:[0,0,1]
	v_fma_f16 v119, v25, 0x2de8, -v164
	v_fmac_f16_e64 v164, 0x2de8, v25
	v_fma_f16 v187, v25, 0xbbdd, -v166
	v_add_f16_e64 v37, v157, v104
	v_add_f16_e32 v88, v117, v88
	v_add_f16_e64 v2, v186, v41
	v_add_f16_e32 v41, v120, v102
	v_fmac_f16_e64 v166, 0xbbdd, v25
	v_add_f16_e32 v86, v90, v86
	v_add_f16_e32 v7, v85, v7
	v_fma_f16 v85, v25, 0xb8d2, -v89
	v_fmac_f16_e32 v89, 0xb8d2, v25
	v_fmamk_f16 v25, v123, 0xb8d2, v87
	v_pack_b32_f16 v90, v123, v124
	v_pk_mul_f16 v27, 0x39e93964, v27
	v_fma_f16 v87, v123, 0xb8d2, -v87
	v_pk_add_f16 v8, v101, v8
	v_add_f16_e32 v2, v85, v2
	v_add_f16_e32 v25, v25, v37
	;; [unrolled: 1-line block ×3, first 2 shown]
	v_pk_fma_f16 v41, 0x396439e9, v90, v27 neg_lo:[0,1,0] neg_hi:[0,1,0]
	v_add_f16_e32 v85, v87, v88
	v_mul_f16_e32 v87, 0xbbb2, v122
	v_pk_add_f16 v8, v118, v8
	v_add_f16_e32 v6, v119, v6
	v_pk_fma_f16 v88, 0x396439e9, v90, v27
	v_pk_fma_f16 v27, 0x396439e9, v90, v27 neg_lo:[0,0,1] neg_hi:[0,0,1]
	v_mul_f16_e32 v89, 0xbbb2, v24
	v_pk_add_f16 v41, v41, v42
	v_fma_f16 v42, v23, 0xb461, -v87
	v_fma_f16 v167, 0xbbdd, v123, v126
	v_pk_add_f16 v8, v27, v8
	v_fmamk_f16 v27, v121, 0xb461, v89
	v_add_f16_e64 v10, v164, v10
	v_add_f16_e32 v6, v42, v6
	v_mul_f16_e32 v42, 0x3836, v122
	v_add_f16_e64 v11, v187, v11
	v_pk_add_f16 v17, v88, v17
	v_fmac_f16_e32 v87, 0xb461, v23
	v_fma_f16 v88, v121, 0xb461, -v89
	v_mul_f16_e32 v89, 0x3836, v24
	v_add_f16_e32 v27, v27, v30
	v_fma_f16 v30, v23, 0xbacd, -v42
	v_add_f16_e64 v38, v167, v38
	v_add_f16_e64 v5, v166, v5
	v_add_f16_e32 v10, v87, v10
	v_add_f16_e32 v40, v88, v40
	v_fmamk_f16 v87, v121, 0xbacd, v89
	v_fmac_f16_e32 v42, 0xbacd, v23
	v_mul_f16_e32 v88, 0x3964, v122
	v_add_f16_e32 v11, v30, v11
	v_fma_f16 v30, v121, 0xbacd, -v89
	v_mul_f16_e32 v89, 0x3964, v24
	v_add_f16_e32 v38, v87, v38
	v_fma_f16 v87, v23, 0x39e9, -v88
	v_add_f16_e32 v5, v42, v5
	v_add_f16_e32 v30, v30, v39
	v_fmamk_f16 v39, v121, 0x39e9, v89
	v_mul_f16_e32 v42, 0xbb29, v122
	v_fmac_f16_e32 v88, 0x39e9, v23
	v_add_f16_e32 v13, v87, v13
	v_fma_f16 v87, v121, 0x39e9, -v89
	v_mul_f16_e32 v89, 0xbb29, v24
	v_add_f16_e32 v39, v39, v46
	v_fma_f16 v46, v23, 0x3722, -v42
	v_add_f16_e32 v1, v88, v1
	v_add_f16_e32 v14, v87, v14
	v_fmamk_f16 v87, v121, 0x3722, v89
	v_fmac_f16_e32 v42, 0x3722, v23
	v_mul_f16_e32 v88, 0xb1e1, v122
	v_add_f16_e32 v4, v46, v4
	v_fma_f16 v46, v121, 0x3722, -v89
	v_mul_f16_e32 v89, 0xb1e1, v24
	v_add_f16_e64 v103, v143, v136
	v_add_f16_e32 v47, v87, v47
	v_fma_f16 v87, v23, 0xbbdd, -v88
	v_add_f16_e32 v32, v42, v32
	v_add_f16_e32 v42, v46, v48
	v_fmamk_f16 v46, v121, 0xbbdd, v89
	v_fmac_f16_e32 v88, 0xbbdd, v23
	v_mul_f16_e32 v48, 0x3bf7, v122
	v_add_f16_e64 v93, v156, v103
	v_add_f16_e32 v36, v87, v36
	v_fma_f16 v87, v121, 0xbbdd, -v89
	v_add_f16_e32 v15, v46, v15
	v_mul_f16_e32 v46, 0x3bf7, v24
	v_add_f16_e32 v3, v88, v3
	v_fma_f16 v88, v23, 0x2de8, -v48
	v_add_f16_e32 v33, v33, v93
	v_add_f16_e32 v86, v87, v86
	v_fmamk_f16 v87, v121, 0x2de8, v46
	v_fmac_f16_e32 v48, 0x2de8, v23
	v_add_f16_e32 v31, v88, v31
	v_mul_f16_e32 v88, 0xb5c8, v122
	v_fma_f16 v46, v121, 0x2de8, -v46
	v_add_f16_e32 v33, v87, v33
	v_mul_f16_e32 v87, 0xb5c8, v24
	v_add_f16_e32 v43, v48, v43
	v_fma_f16 v48, v23, 0x3b76, -v88
	v_fmac_f16_e32 v88, 0x3b76, v23
	v_pack_b32_f16 v23, v24, v23
	v_fmamk_f16 v24, v121, 0x3b76, v87
	v_add_f16_e32 v7, v46, v7
	v_mul_f16_e32 v46, 0xba62, v45
	v_pack_b32_f16 v89, v121, v122
	v_pk_mul_f16 v23, 0xb8d2ba62, v23
	v_fma_f16 v87, v121, 0x3b76, -v87
	v_mul_f16_e32 v90, 0xba62, v22
	v_add_f16_e32 v2, v48, v2
	v_fma_f16 v48, v21, 0xb8d2, -v46
	v_add_f16_e32 v24, v24, v25
	v_pk_fma_f16 v25, 0xba62b8d2, v89, v23 neg_lo:[0,1,0] neg_hi:[0,1,0]
	v_add_f16_e32 v37, v88, v37
	v_fmamk_f16 v88, v44, 0xb8d2, v90
	v_fmac_f16_e32 v46, 0xb8d2, v21
	v_add_f16_e32 v85, v87, v85
	v_pk_add_f16 v25, v25, v41
	v_pk_fma_f16 v41, 0xba62b8d2, v89, v23
	v_mul_f16_e32 v87, 0x3bb2, v45
	v_add_f16_e32 v6, v48, v6
	v_mul_f16_e32 v48, 0xb5c8, v45
	v_pk_fma_f16 v23, 0xba62b8d2, v89, v23 neg_lo:[0,0,1] neg_hi:[0,0,1]
	v_mul_f16_e32 v89, 0x3bb2, v22
	v_fma_f16 v90, v44, 0xb8d2, -v90
	v_pk_add_f16 v17, v41, v17
	v_fma_f16 v41, v21, 0xb461, -v87
	v_add_f16_e32 v27, v88, v27
	v_mul_f16_e32 v88, 0xb5c8, v22
	v_add_f16_e32 v10, v46, v10
	v_fma_f16 v46, v21, 0x3b76, -v48
	v_pk_add_f16 v8, v23, v8
	v_fmamk_f16 v23, v44, 0xb461, v89
	v_fmac_f16_e32 v87, 0xb461, v21
	v_add_f16_e32 v40, v90, v40
	v_fmamk_f16 v90, v44, 0x3b76, v88
	v_fmac_f16_e32 v48, 0x3b76, v21
	v_add_f16_e32 v11, v41, v11
	v_mul_f16_e32 v41, 0xb836, v45
	v_add_f16_e32 v13, v46, v13
	v_mul_f16_e32 v46, 0x3bf7, v45
	v_fma_f16 v89, v44, 0xb461, -v89
	v_add_f16_e32 v23, v23, v38
	v_mul_f16_e32 v38, 0xb836, v22
	v_fma_f16 v88, v44, 0x3b76, -v88
	v_add_f16_e32 v5, v87, v5
	v_fma_f16 v87, v21, 0xbacd, -v41
	v_add_f16_e32 v39, v90, v39
	v_mul_f16_e32 v90, 0x3bf7, v22
	v_add_f16_e32 v1, v48, v1
	v_fma_f16 v48, v21, 0x2de8, -v46
	v_add_f16_e32 v30, v89, v30
	v_fmamk_f16 v89, v44, 0xbacd, v38
	v_fmac_f16_e32 v41, 0xbacd, v21
	v_add_f16_e32 v14, v88, v14
	v_fmamk_f16 v88, v44, 0x2de8, v90
	v_fmac_f16_e32 v46, 0x2de8, v21
	v_add_f16_e32 v4, v87, v4
	v_mul_f16_e32 v87, 0xb964, v45
	v_add_f16_e32 v36, v48, v36
	v_mul_f16_e32 v48, 0xb1e1, v45
	v_fma_f16 v38, v44, 0xbacd, -v38
	v_add_f16_e32 v47, v89, v47
	v_mul_f16_e32 v89, 0xb964, v22
	v_fma_f16 v90, v44, 0x2de8, -v90
	v_add_f16_e32 v32, v41, v32
	v_fma_f16 v41, v21, 0x39e9, -v87
	v_fmac_f16_e32 v87, 0x39e9, v21
	v_add_f16_e32 v15, v88, v15
	v_mul_f16_e32 v88, 0xb1e1, v22
	v_add_f16_e32 v3, v46, v3
	v_fma_f16 v46, v21, 0xbbdd, -v48
	v_fmac_f16_e32 v48, 0xbbdd, v21
	v_pack_b32_f16 v21, v22, v21
	v_add_f16_e32 v38, v38, v42
	v_fmamk_f16 v42, v44, 0x39e9, v89
	v_fma_f16 v89, v44, 0x39e9, -v89
	v_add_f16_e32 v86, v90, v86
	v_fmamk_f16 v90, v44, 0xbbdd, v88
	v_add_f16_e32 v31, v41, v31
	v_mul_f16_e32 v41, 0xb836, v35
	v_fma_f16 v88, v44, 0xbbdd, -v88
	v_pack_b32_f16 v44, v44, v45
	v_pk_mul_f16 v21, 0x37223b29, v21
	v_add_f16_e32 v33, v42, v33
	v_mul_f16_e32 v42, 0xb836, v18
	v_add_f16_e32 v43, v87, v43
	v_fma_f16 v87, v9, 0xbacd, -v41
	v_add_f16_e32 v24, v90, v24
	v_pk_fma_f16 v90, 0x3b293722, v44, v21 neg_lo:[0,1,0] neg_hi:[0,1,0]
	v_fmamk_f16 v22, v34, 0xbacd, v42
	v_fmac_f16_e32 v41, 0xbacd, v9
	v_add_f16_e32 v7, v89, v7
	v_mul_f16_e32 v89, 0x3b29, v35
	v_add_f16_e32 v85, v88, v85
	v_pk_add_f16 v25, v90, v25
	v_pk_fma_f16 v88, 0x3b293722, v44, v21
	v_mul_f16_e32 v90, 0xbbf7, v35
	v_add_f16_e32 v6, v87, v6
	v_mul_f16_e32 v87, 0x3a62, v35
	v_fma_f16 v42, v34, 0xbacd, -v42
	v_mul_f16_e32 v45, 0x3b29, v18
	v_add_f16_e32 v2, v46, v2
	v_fma_f16 v46, v9, 0x3722, -v89
	v_pk_fma_f16 v21, 0x3b293722, v44, v21 neg_lo:[0,0,1] neg_hi:[0,0,1]
	v_mul_f16_e32 v44, 0xbbf7, v18
	v_pk_add_f16 v17, v88, v17
	v_fma_f16 v88, v9, 0x2de8, -v90
	v_add_f16_e32 v22, v22, v27
	v_mul_f16_e32 v27, 0x3a62, v18
	v_add_f16_e32 v10, v41, v10
	v_fma_f16 v41, v9, 0xb8d2, -v87
	v_add_f16_e32 v37, v48, v37
	v_fmamk_f16 v48, v34, 0x3722, v45
	v_fmac_f16_e32 v89, 0x3722, v9
	v_pk_add_f16 v8, v21, v8
	v_fmamk_f16 v21, v34, 0x2de8, v44
	v_fmac_f16_e32 v90, 0x2de8, v9
	v_add_f16_e32 v40, v42, v40
	v_fmamk_f16 v42, v34, 0xb8d2, v27
	v_fmac_f16_e32 v87, 0xb8d2, v9
	v_add_f16_e32 v11, v46, v11
	v_mul_f16_e32 v46, 0xb5c8, v35
	v_add_f16_e32 v13, v88, v13
	v_mul_f16_e32 v88, 0xb1e1, v35
	;; [unrolled: 2-line block ×3, first 2 shown]
	v_fma_f16 v45, v34, 0x3722, -v45
	v_fma_f16 v44, v34, 0x2de8, -v44
	v_add_f16_e32 v23, v48, v23
	v_mul_f16_e32 v48, 0xb5c8, v18
	v_fma_f16 v27, v34, 0xb8d2, -v27
	v_add_f16_e32 v5, v89, v5
	v_fma_f16 v89, v9, 0x3b76, -v46
	v_fmac_f16_e32 v46, 0x3b76, v9
	v_add_f16_e32 v21, v21, v39
	v_mul_f16_e32 v39, 0xb1e1, v18
	v_add_f16_e32 v1, v90, v1
	v_fma_f16 v90, v9, 0xbbdd, -v88
	v_fmac_f16_e32 v88, 0xbbdd, v9
	v_add_f16_e32 v42, v42, v47
	v_mul_f16_e32 v47, 0x3964, v18
	v_add_f16_e32 v32, v87, v32
	v_fma_f16 v87, v9, 0x39e9, -v41
	v_fmac_f16_e32 v41, 0x39e9, v9
	v_pack_b32_f16 v9, v18, v9
	v_add_f16_e32 v30, v45, v30
	v_fmamk_f16 v45, v34, 0x3b76, v48
	v_fma_f16 v48, v34, 0x3b76, -v48
	v_add_f16_e32 v14, v44, v14
	v_fmamk_f16 v44, v34, 0xbbdd, v39
	v_fma_f16 v39, v34, 0xbbdd, -v39
	;; [unrolled: 3-line block ×3, first 2 shown]
	v_pack_b32_f16 v34, v34, v35
	v_pk_mul_f16 v9, 0xb461bbb2, v9
	v_add_f16_e32 v36, v89, v36
	v_mul_f16_e32 v38, 0xb1e1, v29
	v_mul_f16_e32 v89, 0x35c8, v29
	v_add_f16_e32 v33, v44, v33
	v_mul_f16_e32 v44, 0x35c8, v20
	v_add_f16_e32 v24, v27, v24
	v_pk_fma_f16 v27, 0xbbb2b461, v34, v9 neg_lo:[0,1,0] neg_hi:[0,1,0]
	v_add_f16_e32 v15, v45, v15
	v_mul_f16_e32 v45, 0xb1e1, v20
	v_add_f16_e32 v3, v46, v3
	v_fma_f16 v46, v19, 0xbbdd, -v38
	v_add_f16_e32 v31, v90, v31
	v_add_f16_e32 v43, v88, v43
	v_fma_f16 v88, v19, 0x3b76, -v89
	v_fmamk_f16 v18, v12, 0x3b76, v44
	v_fma_f16 v44, v12, 0x3b76, -v44
	v_mul_f16_e32 v90, 0xb836, v29
	v_pk_add_f16 v25, v27, v25
	v_pk_fma_f16 v27, 0xbbb2b461, v34, v9
	v_add_f16_e32 v48, v48, v86
	v_fmamk_f16 v86, v12, 0xbbdd, v45
	v_fmac_f16_e32 v38, 0xbbdd, v19
	v_fma_f16 v45, v12, 0xbbdd, -v45
	v_fmac_f16_e32 v89, 0x3b76, v19
	v_mul_f16_e32 v35, 0xb836, v20
	v_add_f16_e32 v2, v87, v2
	v_fma_f16 v87, v19, 0xbacd, -v90
	v_add_f16_e32 v92, v41, v37
	v_fmac_f16_e32 v90, 0xbacd, v19
	v_add_f16_e32 v47, v47, v85
	v_mul_f16_e32 v85, 0x3964, v29
	v_pk_add_f16 v17, v27, v17
	v_add_f16_e32 v6, v46, v6
	v_mul_f16_e32 v46, 0xba62, v29
	v_mul_f16_e32 v27, 0xba62, v20
	v_add_f16_e32 v11, v88, v11
	v_mul_f16_e32 v88, 0x3b29, v29
	v_add_f16_e32 v41, v44, v30
	;; [unrolled: 2-line block ×3, first 2 shown]
	v_fmamk_f16 v37, v12, 0xbacd, v35
	v_pk_fma_f16 v9, 0xbbb2b461, v34, v9 neg_lo:[0,0,1] neg_hi:[0,0,1]
	v_mul_f16_e32 v34, 0x3964, v20
	v_fma_f16 v35, v12, 0xbacd, -v35
	v_fma_f16 v93, v19, 0x39e9, -v85
	v_fmac_f16_e32 v85, 0x39e9, v19
	v_add_f16_e32 v22, v86, v22
	v_add_f16_e32 v38, v38, v10
	v_fma_f16 v10, v19, 0xb8d2, -v46
	v_add_f16_e32 v40, v45, v40
	v_fmamk_f16 v86, v12, 0xb8d2, v27
	v_fmac_f16_e32 v46, 0xb8d2, v19
	v_add_f16_e32 v18, v18, v23
	v_mul_f16_e32 v23, 0x3b29, v20
	v_fma_f16 v94, v12, 0xb8d2, -v27
	v_add_f16_e32 v39, v89, v5
	v_fma_f16 v5, v19, 0x3722, -v88
	v_fmac_f16_e32 v88, 0x3722, v19
	v_mul_f16_e32 v45, 0xbbb2, v20
	v_add_f16_e32 v27, v90, v1
	v_fma_f16 v1, v19, 0xb461, -v44
	v_fmac_f16_e32 v44, 0xb461, v19
	v_pack_b32_f16 v19, v20, v19
	v_pk_add_f16 v8, v9, v8
	v_fmamk_f16 v9, v12, 0x39e9, v34
	v_fma_f16 v34, v12, 0x39e9, -v34
	v_fmamk_f16 v30, v12, 0x3722, v23
	v_add_f16_e32 v13, v87, v13
	v_fma_f16 v23, v12, 0x3722, -v23
	v_add_f16_e32 v21, v37, v21
	v_add_f16_e32 v37, v35, v14
	v_mul_lo_u16 v14, v26, 17
	v_fmamk_f16 v35, v12, 0xb461, v45
	v_fma_f16 v87, v12, 0xb461, -v45
	v_pack_b32_f16 v12, v12, v29
	v_pk_mul_f16 v19, 0x2de83bf7, v19
	v_and_b32_e32 v14, 0xffff, v14
	v_add_f16_e32 v7, v23, v7
	v_add_f16_e32 v1, v1, v2
	v_add_f16_e32 v2, v35, v24
	v_pk_fma_f16 v23, 0x3bf72de8, v12, v19 neg_lo:[0,1,0] neg_hi:[0,1,0]
	v_pk_fma_f16 v24, 0x3bf72de8, v12, v19
	v_pk_fma_f16 v12, 0x3bf72de8, v12, v19 neg_lo:[0,0,1] neg_hi:[0,0,1]
	v_add_f16_e32 v4, v93, v4
	v_add_f16_e32 v9, v9, v42
	;; [unrolled: 1-line block ×6, first 2 shown]
	v_lshlrev_b32_e32 v45, 2, v14
	v_pk_add_f16 v23, v23, v25
	v_pk_add_f16 v17, v24, v17
	;; [unrolled: 1-line block ×3, first 2 shown]
	v_pack_b32_f16 v1, v1, v2
	v_add_f16_e32 v29, v88, v43
	v_add_f16_e32 v19, v44, v92
	;; [unrolled: 1-line block ×7, first 2 shown]
	v_pack_b32_f16 v11, v11, v18
	v_pack_b32_f16 v6, v6, v22
	;; [unrolled: 1-line block ×6, first 2 shown]
	ds_store_2addr_b32 v45, v0, v1 offset1:7
	v_alignbit_b32 v0, v8, v17, 16
	v_alignbit_b32 v1, v17, v23, 16
	v_pack_b32_f16 v7, v29, v7
	v_pack_b32_f16 v8, v19, v31
	;; [unrolled: 1-line block ×7, first 2 shown]
	ds_store_2addr_b32 v45, v6, v11 offset0:1 offset1:2
	ds_store_2addr_b32 v45, v4, v2 offset0:3 offset1:4
	;; [unrolled: 1-line block ×7, first 2 shown]
	ds_store_b32 v45, v14 offset:64
	v_add_nc_u32_e32 v0, 0x400, v49
	v_add_nc_u32_e32 v1, 0x800, v49
	;; [unrolled: 1-line block ×4, first 2 shown]
	global_wb scope:SCOPE_SE
	s_wait_dscnt 0x0
	s_barrier_signal -1
	s_barrier_wait -1
	global_inv scope:SCOPE_SE
	ds_load_2addr_b32 v[18:19], v0 offset0:33 offset1:152
	v_add_nc_u32_e32 v0, 0x1a00, v49
	ds_load_2addr_b32 v[12:13], v49 offset1:119
	ds_load_2addr_b32 v[24:25], v1 offset0:66 offset1:185
	ds_load_2addr_b32 v[22:23], v2 offset0:99 offset1:218
	;; [unrolled: 1-line block ×5, first 2 shown]
	v_add_co_u32 v35, s0, s8, v49
	s_wait_alu 0xf1ff
	v_add_co_ci_u32_e64 v36, null, s9, 0, s0
                                        ; implicit-def: $vgpr26
                                        ; implicit-def: $vgpr46
                                        ; implicit-def: $vgpr42
                                        ; implicit-def: $vgpr47
                                        ; implicit-def: $vgpr44
                                        ; implicit-def: $vgpr48
                                        ; implicit-def: $vgpr43
                                        ; implicit-def: $vgpr99
	s_and_saveexec_b32 s0, vcc_lo
	s_cbranch_execz .LBB0_3
; %bb.2:
	ds_load_b32 v27, v49 offset:952
	ds_load_b32 v39, v49 offset:2108
	;; [unrolled: 1-line block ×7, first 2 shown]
	s_wait_dscnt 0x6
	v_lshrrev_b32_e32 v37, 16, v27
	s_wait_dscnt 0x5
	v_lshrrev_b32_e32 v41, 16, v39
	;; [unrolled: 2-line block ×7, first 2 shown]
.LBB0_3:
	s_wait_alu 0xfffe
	s_or_b32 exec_lo, exec_lo, s0
	v_and_b32_e32 v0, 0xff, v76
	v_add_nc_u16 v2, v76, 0xee
	s_wait_dscnt 0x6
	v_lshrrev_b32_e32 v105, 16, v18
	s_wait_dscnt 0x4
	v_lshrrev_b32_e32 v107, 16, v24
	;; [unrolled: 2-line block ×3, first 2 shown]
	v_mul_lo_u16 v0, 0xf1, v0
	v_and_b32_e32 v4, 0xffff, v2
	s_wait_dscnt 0x2
	v_lshrrev_b32_e32 v110, 16, v20
	s_wait_dscnt 0x1
	v_lshrrev_b32_e32 v113, 16, v16
	;; [unrolled: 2-line block ×3, first 2 shown]
	v_lshrrev_b16 v87, 12, v0
	v_add_nc_u16 v0, v76, 0x77
	v_lshrrev_b32_e32 v115, 16, v19
	v_lshrrev_b32_e32 v116, 16, v25
	;; [unrolled: 1-line block ×3, first 2 shown]
	v_mul_lo_u16 v1, v87, 17
	v_and_b32_e32 v3, 0xff, v0
	v_lshrrev_b32_e32 v118, 16, v21
	v_lshrrev_b32_e32 v119, 16, v17
	;; [unrolled: 1-line block ×3, first 2 shown]
	v_sub_nc_u16 v1, v76, v1
	v_mul_lo_u16 v3, 0xf1, v3
	v_lshrrev_b32_e32 v121, 16, v12
	v_lshrrev_b32_e32 v103, 16, v13
	v_and_b32_e32 v87, 0xffff, v87
	v_and_b32_e32 v88, 0xff, v1
	v_mul_u32_u24_e32 v1, 0xf0f1, v4
	v_lshrrev_b16 v89, 12, v3
	s_delay_alu instid0(VALU_DEP_4) | instskip(NEXT) | instid1(VALU_DEP_4)
	v_mul_u32_u24_e32 v87, 0x77, v87
	v_mul_u32_u24_e32 v3, 6, v88
	s_delay_alu instid0(VALU_DEP_4) | instskip(NEXT) | instid1(VALU_DEP_4)
	v_lshrrev_b32_e32 v4, 20, v1
	v_mul_lo_u16 v1, v89, 17
	v_and_b32_e32 v89, 0xffff, v89
	v_add_lshl_u32 v94, v87, v88, 2
	v_lshlrev_b32_e32 v3, 2, v3
	scratch_store_b32 off, v4, off          ; 4-byte Folded Spill
	v_mul_lo_u16 v4, v4, 17
	v_sub_nc_u16 v0, v0, v1
	v_mul_u32_u24_e32 v89, 0x77, v89
	s_clause 0x1
	global_load_b128 v[8:11], v3, s[10:11]
	global_load_b64 v[33:34], v3, s[10:11] offset:16
	v_sub_nc_u16 v86, v2, v4
	v_and_b32_e32 v90, 0xff, v0
	s_delay_alu instid0(VALU_DEP_2) | instskip(NEXT) | instid1(VALU_DEP_2)
	v_mul_lo_u16 v1, v86, 6
	v_mul_u32_u24_e32 v0, 6, v90
	v_add_lshl_u32 v93, v89, v90, 2
	s_delay_alu instid0(VALU_DEP_3) | instskip(NEXT) | instid1(VALU_DEP_3)
	v_and_b32_e32 v1, 0xffff, v1
	v_lshlrev_b32_e32 v0, 2, v0
	s_delay_alu instid0(VALU_DEP_2)
	v_lshlrev_b32_e32 v29, 2, v1
	s_clause 0x3
	global_load_b128 v[4:7], v0, s[10:11]
	global_load_b64 v[31:32], v0, s[10:11] offset:16
	global_load_b128 v[0:3], v29, s[10:11]
	global_load_b64 v[29:30], v29, s[10:11] offset:16
	global_wb scope:SCOPE_SE
	s_wait_loadcnt 0x0
	s_wait_storecnt 0x0
	s_barrier_signal -1
	s_barrier_wait -1
	global_inv scope:SCOPE_SE
	v_lshrrev_b32_e32 v112, 16, v8
	v_lshrrev_b32_e32 v111, 16, v9
	;; [unrolled: 1-line block ×6, first 2 shown]
	v_mul_f16_e32 v122, v105, v112
	v_mul_f16_e32 v123, v18, v112
	;; [unrolled: 1-line block ×6, first 2 shown]
	v_mul_f16_e64 v128, v110, v106
	v_mul_f16_e64 v129, v20, v106
	;; [unrolled: 1-line block ×6, first 2 shown]
	v_lshrrev_b32_e32 v104, 16, v4
	v_lshrrev_b32_e32 v101, 16, v5
	;; [unrolled: 1-line block ×12, first 2 shown]
	v_fma_f16 v18, v18, v8, -v122
	v_fmac_f16_e32 v123, v105, v8
	v_fma_f16 v24, v24, v9, -v124
	v_fmac_f16_e32 v125, v107, v9
	;; [unrolled: 2-line block ×3, first 2 shown]
	v_fma_f16 v20, v20, v11, -v128
	v_fmac_f16_e64 v129, v110, v11
	v_fma_f16 v16, v16, v33, -v130
	v_fmac_f16_e64 v131, v113, v33
	;; [unrolled: 2-line block ×3, first 2 shown]
	v_mul_f16_e32 v105, v115, v104
	v_mul_f16_e32 v107, v19, v104
	;; [unrolled: 1-line block ×9, first 2 shown]
	v_mul_f16_e64 v128, v17, v96
	v_mul_f16_e64 v130, v120, v95
	;; [unrolled: 1-line block ×15, first 2 shown]
	v_fma_f16 v19, v19, v4, -v105
	v_fmac_f16_e32 v107, v115, v4
	v_fma_f16 v25, v25, v5, -v108
	v_fmac_f16_e32 v110, v116, v5
	;; [unrolled: 2-line block ×4, first 2 shown]
	v_fma_f16 v17, v17, v31, -v126
	v_fmac_f16_e64 v128, v119, v31
	v_fma_f16 v15, v15, v32, -v130
	v_fmac_f16_e64 v132, v120, v32
	;; [unrolled: 2-line block ×4, first 2 shown]
	v_fmac_f16_e64 v139, v46, v2
	v_fma_f16 v40, v43, v3, -v140
	v_fmac_f16_e64 v141, v99, v3
	v_fma_f16 v41, v42, v29, -v142
	;; [unrolled: 2-line block ×3, first 2 shown]
	v_fmac_f16_e64 v145, v48, v30
	v_add_f16_e32 v43, v18, v14
	v_add_f16_e64 v44, v123, v133
	v_sub_f16_e32 v14, v18, v14
	v_sub_f16_e64 v18, v123, v133
	v_add_f16_e32 v46, v24, v16
	v_add_f16_e64 v47, v125, v131
	v_sub_f16_e32 v16, v24, v16
	v_sub_f16_e64 v24, v125, v131
	;; [unrolled: 4-line block ×3, first 2 shown]
	v_fma_f16 v26, v26, v2, -v138
	v_add_f16_e32 v105, v46, v43
	v_add_f16_e32 v108, v47, v44
	v_sub_f16_e32 v113, v46, v43
	v_sub_f16_e32 v115, v47, v44
	v_sub_f16_e32 v43, v43, v48
	v_sub_f16_e32 v44, v44, v99
	v_sub_f16_e32 v46, v48, v46
	v_sub_f16_e32 v47, v99, v47
	v_add_f16_e32 v116, v20, v16
	v_add_f16_e32 v117, v22, v24
	v_sub_f16_e32 v118, v20, v16
	v_sub_f16_e32 v119, v22, v24
	;; [unrolled: 1-line block ×4, first 2 shown]
	v_add_f16_e32 v120, v19, v15
	v_add_f16_e64 v122, v107, v132
	v_sub_f16_e32 v15, v19, v15
	v_sub_f16_e64 v19, v107, v132
	v_add_f16_e32 v107, v25, v17
	v_add_f16_e64 v123, v110, v128
	v_sub_f16_e32 v17, v25, v17
	v_sub_f16_e64 v25, v110, v128
	v_add_f16_e32 v110, v23, v21
	v_add_f16_e32 v125, v114, v124
	v_sub_f16_e32 v21, v21, v23
	v_sub_f16_e32 v23, v124, v114
	v_add_f16_e32 v114, v39, v42
	v_add_f16_e64 v124, v135, v145
	v_add_f16_e32 v126, v38, v41
	v_add_f16_e64 v127, v137, v143
	v_sub_f16_e32 v20, v14, v20
	v_sub_f16_e32 v22, v18, v22
	;; [unrolled: 1-line block ×3, first 2 shown]
	v_sub_f16_e64 v42, v135, v145
	v_sub_f16_e32 v38, v38, v41
	v_sub_f16_e64 v41, v137, v143
	v_add_f16_e64 v128, v26, v40
	v_add_f16_e64 v129, v139, v141
	v_sub_f16_e32 v26, v40, v26
	v_sub_f16_e64 v40, v141, v139
	v_add_f16_e32 v48, v48, v105
	v_add_f16_e32 v99, v99, v108
	;; [unrolled: 1-line block ×4, first 2 shown]
	v_mul_f16_e32 v43, 0x3a52, v43
	v_mul_f16_e32 v44, 0x3a52, v44
	;; [unrolled: 1-line block ×8, first 2 shown]
	v_add_f16_e64 v130, v107, v120
	v_add_f16_e64 v131, v123, v122
	v_sub_f16_e64 v132, v107, v120
	v_sub_f16_e64 v133, v123, v122
	v_sub_f16_e32 v120, v120, v110
	v_sub_f16_e32 v122, v122, v125
	;; [unrolled: 1-line block ×4, first 2 shown]
	v_add_f16_e64 v134, v21, v17
	v_sub_f16_e64 v136, v21, v17
	v_sub_f16_e64 v137, v23, v25
	v_sub_f16_e32 v17, v17, v15
	v_add_f16_e64 v138, v126, v114
	v_add_f16_e64 v139, v127, v124
	;; [unrolled: 1-line block ×3, first 2 shown]
	v_sub_f16_e32 v21, v15, v21
	v_sub_f16_e32 v23, v19, v23
	;; [unrolled: 1-line block ×3, first 2 shown]
	v_sub_f16_e64 v140, v126, v114
	v_sub_f16_e64 v141, v127, v124
	;; [unrolled: 1-line block ×6, first 2 shown]
	v_add_f16_e64 v142, v26, v38
	v_add_f16_e64 v143, v40, v41
	v_sub_f16_e64 v144, v26, v38
	v_sub_f16_e64 v145, v40, v41
	v_sub_f16_e32 v38, v38, v39
	v_sub_f16_e32 v41, v41, v42
	v_add_f16_e64 v146, v48, v12
	v_add_f16_e32 v121, v99, v121
	v_fmamk_f16 v46, v46, 0x2b26, v43
	v_fmamk_f16 v47, v47, 0x2b26, v44
	v_fma_f16 v105, v113, 0x39e0, -v105
	v_fma_f16 v108, v115, 0x39e0, -v108
	;; [unrolled: 1-line block ×4, first 2 shown]
	v_fmamk_f16 v113, v20, 0x3574, v116
	v_fmamk_f16 v115, v22, 0x3574, v117
	v_fma_f16 v116, v16, 0x3b00, -v116
	v_fma_f16 v24, v24, 0x3b00, -v117
	;; [unrolled: 1-line block ×4, first 2 shown]
	v_add_f16_e64 v110, v110, v130
	v_add_f16_e64 v117, v125, v131
	v_add_f16_e64 v118, v134, v15
	v_mul_f16_e32 v12, 0x3a52, v120
	v_mul_f16_e32 v15, 0x3a52, v122
	;; [unrolled: 1-line block ×4, first 2 shown]
	v_mul_f16_e64 v120, 0xb846, v136
	v_mul_f16_e64 v122, 0xb846, v137
	v_mul_f16_e32 v125, 0x3b00, v17
	v_add_f16_e64 v128, v128, v138
	v_add_f16_e64 v129, v129, v139
	v_sub_f16_e32 v26, v39, v26
	v_sub_f16_e32 v40, v42, v40
	v_add_f16_e64 v19, v135, v19
	v_mul_f16_e64 v130, 0x3b00, v25
	v_add_f16_e64 v39, v142, v39
	v_add_f16_e64 v42, v143, v42
	v_mul_f16_e32 v124, 0x3a52, v124
	v_mul_f16_e64 v131, 0x2b26, v126
	v_mul_f16_e64 v135, 0xb846, v144
	;; [unrolled: 1-line block ×5, first 2 shown]
	v_lshlrev_b32_e32 v139, 16, v121
	v_and_b32_e32 v142, 0xffff, v146
	v_fmac_f16_e64 v146, 0xbcab, v48
	v_fmac_f16_e32 v121, 0xbcab, v99
	v_fmac_f16_e32 v115, 0x370e, v18
	;; [unrolled: 1-line block ×4, first 2 shown]
	v_add_f16_e32 v18, v13, v110
	v_add_f16_e32 v48, v103, v117
	v_fmamk_f16 v99, v107, 0x2b26, v12
	v_fmamk_f16 v103, v123, 0x2b26, v15
	v_fma_f16 v107, v132, 0x39e0, -v16
	v_fma_f16 v119, v133, 0x39e0, -v119
	;; [unrolled: 1-line block ×4, first 2 shown]
	v_fma_f16 v133, 0x3574, v21, v120
	v_fma_f16 v143, 0x3574, v23, v122
	v_fma_f16 v120, v17, 0x3b00, -v120
	v_fma_f16 v25, v25, 0x3b00, -v122
	;; [unrolled: 1-line block ×3, first 2 shown]
	v_add_f16_e64 v12, v27, v128
	v_add_f16_e64 v13, v37, v129
	v_mul_f16_e64 v134, 0x2b26, v127
	v_mul_f16_e32 v114, 0x3a52, v114
	v_fmac_f16_e32 v113, 0x370e, v14
	v_fmac_f16_e32 v116, 0x370e, v14
	;; [unrolled: 1-line block ×3, first 2 shown]
	v_fma_f16 v23, v23, 0xb574, -v130
	v_fmamk_f16 v27, v127, 0x2b26, v124
	v_fma_f16 v37, v140, 0x39e0, -v131
	v_fma_f16 v14, 0x3574, v26, v135
	v_fma_f16 v15, 0x3574, v40, v136
	v_fma_f16 v38, v38, 0x3b00, -v135
	v_fma_f16 v41, v41, 0x3b00, -v136
	;; [unrolled: 1-line block ×4, first 2 shown]
	v_add_f16_e64 v40, v46, v146
	v_add_f16_e32 v46, v47, v121
	v_add_f16_e64 v47, v105, v146
	v_add_f16_e32 v105, v108, v121
	;; [unrolled: 2-line block ×3, first 2 shown]
	v_fmamk_f16 v108, v110, 0xbcab, v18
	v_fmamk_f16 v110, v117, 0xbcab, v48
	v_fmac_f16_e64 v133, 0x370e, v118
	v_fmac_f16_e32 v120, 0x370e, v118
	v_fmac_f16_e32 v122, 0x370e, v118
	v_fma_f16 v117, 0xbcab, v128, v12
	v_fma_f16 v118, 0xbcab, v129, v13
	v_fma_f16 v125, v141, 0x39e0, -v134
	v_fmamk_f16 v21, v126, 0x2b26, v114
	v_fma_f16 v114, v140, 0xb9e0, -v114
	v_fma_f16 v124, v141, 0xb9e0, -v124
	v_fmac_f16_e64 v143, 0x370e, v19
	v_fmac_f16_e32 v25, 0x370e, v19
	v_fmac_f16_e32 v23, 0x370e, v19
	v_fmac_f16_e32 v14, 0x370e, v39
	v_fmac_f16_e32 v15, 0x370e, v42
	v_fmac_f16_e32 v38, 0x370e, v39
	v_fmac_f16_e32 v41, 0x370e, v42
	v_fmac_f16_e32 v16, 0x370e, v39
	v_fmac_f16_e32 v17, 0x370e, v42
	v_pack_b32_f16 v39, v18, v48
	v_add_f16_e32 v42, v115, v40
	v_sub_f16_e32 v48, v46, v113
	v_add_f16_e32 v121, v22, v43
	v_sub_f16_e32 v126, v44, v20
	v_sub_f16_e32 v22, v43, v22
	v_add_f16_e32 v43, v20, v44
	v_add_f16_e32 v44, v113, v46
	;; [unrolled: 1-line block ×7, first 2 shown]
	v_sub_f16_e32 v127, v47, v24
	v_add_f16_e64 v128, v116, v105
	v_add_f16_e32 v24, v24, v47
	v_sub_f16_e32 v47, v105, v116
	v_add_f16_e32 v105, v119, v110
	v_add_f16_e32 v107, v123, v108
	v_add_f16_e64 v108, v132, v110
	v_add_f16_e32 v37, v125, v118
	v_sub_f16_e32 v40, v40, v115
	v_add_f16_e32 v18, v21, v117
	v_add_f16_e32 v20, v114, v117
	;; [unrolled: 1-line block ×3, first 2 shown]
	v_or_b32_e32 v26, v139, v142
	v_add_f16_e64 v115, v143, v46
	v_sub_f16_e64 v116, v99, v133
	v_sub_f16_e32 v119, v103, v25
	v_add_f16_e32 v25, v25, v103
	v_add_f16_e64 v124, v133, v99
	v_sub_f16_e32 v99, v27, v41
	v_add_f16_e32 v103, v41, v27
	v_pack_b32_f16 v27, v42, v48
	v_add_f16_e32 v117, v23, v107
	v_sub_f16_e32 v118, v108, v122
	v_add_f16_e32 v123, v120, v105
	v_sub_f16_e32 v120, v105, v120
	v_sub_f16_e32 v23, v107, v23
	v_add_f16_e32 v105, v38, v37
	v_sub_f16_e32 v107, v37, v38
	v_pack_b32_f16 v37, v121, v126
	v_pack_b32_f16 v38, v127, v128
	v_add_f16_e32 v122, v122, v108
	v_pack_b32_f16 v24, v24, v47
	v_pack_b32_f16 v22, v22, v43
	v_sub_f16_e64 v46, v46, v143
	v_sub_f16_e32 v108, v20, v17
	v_add_f16_e32 v110, v16, v21
	v_sub_f16_e32 v113, v18, v15
	v_add_f16_e32 v114, v14, v19
	v_pack_b32_f16 v40, v40, v44
	ds_store_2addr_b32 v94, v26, v27 offset1:17
	ds_store_2addr_b32 v94, v37, v38 offset0:34 offset1:51
	ds_store_2addr_b32 v94, v24, v22 offset0:68 offset1:85
	v_pack_b32_f16 v22, v115, v116
	v_pack_b32_f16 v24, v117, v118
	;; [unrolled: 1-line block ×6, first 2 shown]
	ds_store_b32 v94, v40 offset:408
	ds_store_2addr_b32 v93, v39, v22 offset1:17
	ds_store_2addr_b32 v93, v24, v26 offset0:34 offset1:51
	ds_store_2addr_b32 v93, v25, v23 offset0:68 offset1:85
	ds_store_b32 v93, v27 offset:408
	s_and_saveexec_b32 s0, vcc_lo
	s_cbranch_execz .LBB0_5
; %bb.4:
	scratch_load_b32 v22, off, off          ; 4-byte Folded Reload
	v_sub_f16_e32 v14, v19, v14
	v_add_f16_e32 v15, v15, v18
	v_sub_f16_e32 v16, v21, v16
	v_add_f16_e32 v17, v17, v20
	v_perm_b32 v12, v13, v12, 0x5040100
	v_perm_b32 v13, v105, v99, 0x5040100
	v_pack_b32_f16 v14, v15, v14
	v_perm_b32 v19, v107, v103, 0x5040100
	v_pack_b32_f16 v16, v17, v16
	v_perm_b32 v17, v110, v108, 0x5040100
	s_wait_loadcnt 0x0
	v_mad_u16 v22, 0x77, v22, v86
	s_delay_alu instid0(VALU_DEP_1) | instskip(NEXT) | instid1(VALU_DEP_1)
	v_and_b32_e32 v18, 0xffff, v22
	v_lshlrev_b32_e32 v15, 2, v18
	v_perm_b32 v18, v114, v113, 0x5040100
	ds_store_2addr_b32 v15, v12, v14 offset1:17
	ds_store_2addr_b32 v15, v16, v13 offset0:34 offset1:51
	ds_store_2addr_b32 v15, v19, v17 offset0:68 offset1:85
	ds_store_b32 v15, v18 offset:408
.LBB0_5:
	s_wait_alu 0xfffe
	s_or_b32 exec_lo, exec_lo, s0
	v_lshlrev_b32_e32 v38, 6, v76
	global_wb scope:SCOPE_SE
	s_wait_dscnt 0x0
	s_barrier_signal -1
	s_barrier_wait -1
	global_inv scope:SCOPE_SE
	s_clause 0x1
	global_load_b128 v[16:19], v38, s[10:11] offset:408
	global_load_b128 v[12:15], v38, s[10:11] offset:424
	v_add_nc_u32_e32 v37, 0x200, v49
	v_add_nc_u32_e32 v39, 0x600, v49
	;; [unrolled: 1-line block ×3, first 2 shown]
	ds_load_2addr_b32 v[24:25], v37 offset0:110 offset1:229
	ds_load_2addr_b32 v[22:23], v39 offset0:92 offset1:211
	;; [unrolled: 1-line block ×3, first 2 shown]
	v_add_nc_u32_e32 v46, 0xe00, v49
	v_add_nc_u32_e32 v131, 0x1600, v49
	s_add_nc_u64 s[0:1], s[8:9], 0x1f9c
	s_wait_dscnt 0x2
	v_lshrrev_b32_e32 v40, 16, v24
	s_wait_dscnt 0x1
	v_lshrrev_b32_e32 v125, 16, v22
	v_lshrrev_b32_e32 v130, 16, v23
	;; [unrolled: 1-line block ×3, first 2 shown]
	s_wait_dscnt 0x0
	v_lshrrev_b32_e32 v132, 16, v20
	v_lshrrev_b32_e32 v133, 16, v21
	s_wait_loadcnt 0x1
	v_lshrrev_b32_e32 v127, 16, v19
	s_wait_loadcnt 0x0
	v_lshrrev_b32_e32 v126, 16, v12
	v_lshrrev_b32_e32 v129, 16, v17
	;; [unrolled: 1-line block ×4, first 2 shown]
	v_mul_f16_e32 v42, v125, v127
	v_mul_f16_e64 v43, v130, v126
	v_mul_f16_e64 v26, v40, v129
	v_lshrrev_b32_e32 v115, 16, v14
	v_mul_f16_e64 v134, v24, v129
	v_fma_f16 v146, v22, v19, -v42
	v_fma_f16 v153, v23, v12, -v43
	ds_load_2addr_b32 v[42:43], v46 offset0:56 offset1:175
	v_mul_f16_e64 v27, v48, v128
	v_fma_f16 v135, v24, v17, -v26
	v_mul_f16_e64 v24, v132, v116
	v_lshrrev_b32_e32 v124, 16, v15
	v_mul_f16_e64 v139, v25, v128
	v_fma_f16 v140, v25, v18, -v27
	v_mul_f16_e64 v25, v133, v115
	v_mul_f16_e64 v164, v20, v116
	v_fma_f16 v165, v20, v13, -v24
	v_mul_f16_e64 v145, v22, v127
	v_mul_f16_e64 v152, v23, v126
	;; [unrolled: 1-line block ×3, first 2 shown]
	v_fma_f16 v167, v21, v14, -v25
	v_fmac_f16_e64 v134, v40, v17
	v_fmac_f16_e64 v145, v125, v19
	;; [unrolled: 1-line block ×3, first 2 shown]
	v_lshrrev_b32_e32 v130, 16, v16
	v_fmac_f16_e64 v139, v48, v18
	v_fmac_f16_e64 v164, v132, v13
	s_wait_dscnt 0x0
	v_lshrrev_b32_e32 v136, 16, v42
	v_lshrrev_b32_e32 v137, 16, v43
	v_mul_f16_e64 v183, v42, v124
	v_fmac_f16_e64 v166, v133, v14
	s_delay_alu instid0(VALU_DEP_4) | instskip(NEXT) | instid1(VALU_DEP_3)
	v_mul_f16_e64 v20, v136, v124
	v_fmac_f16_e64 v183, v136, v15
	s_delay_alu instid0(VALU_DEP_2)
	v_fma_f16 v170, v42, v15, -v20
	s_clause 0x1
	global_load_b128 v[24:27], v38, s[10:11] offset:440
	global_load_b128 v[20:23], v38, s[10:11] offset:456
	v_add_nc_u32_e32 v42, 0x1200, v49
	s_wait_loadcnt 0x1
	v_lshrrev_b32_e32 v121, 16, v24
	v_lshrrev_b32_e32 v123, 16, v25
	;; [unrolled: 1-line block ×4, first 2 shown]
	s_wait_loadcnt 0x0
	v_lshrrev_b32_e32 v118, 16, v20
	v_mul_f16_e64 v38, v137, v121
	v_mul_f16_e64 v184, v43, v121
	v_lshrrev_b32_e32 v120, 16, v21
	v_lshrrev_b32_e32 v125, 16, v23
	s_delay_alu instid0(VALU_DEP_4)
	v_fma_f16 v173, v43, v24, -v38
	ds_load_2addr_b32 v[43:44], v42 offset0:38 offset1:157
	v_fmac_f16_e64 v184, v137, v24
	s_wait_dscnt 0x0
	v_lshrrev_b32_e32 v38, 16, v43
	v_lshrrev_b32_e32 v138, 16, v44
	v_mul_f16_e64 v181, v43, v123
	v_mul_f16_e64 v175, v44, v122
	s_delay_alu instid0(VALU_DEP_4) | instskip(NEXT) | instid1(VALU_DEP_3)
	v_mul_f16_e32 v47, v38, v123
	v_fmac_f16_e64 v181, v38, v25
	ds_load_b32 v38, v49 offset:7616
	v_fmac_f16_e64 v175, v138, v26
	v_fma_f16 v171, v43, v25, -v47
	v_mul_f16_e64 v47, v138, v122
	s_delay_alu instid0(VALU_DEP_1) | instskip(SKIP_4) | instid1(VALU_DEP_1)
	v_fma_f16 v172, v44, v26, -v47
	ds_load_2addr_b32 v[43:44], v131 offset0:20 offset1:139
	s_wait_dscnt 0x1
	v_lshrrev_b32_e32 v40, 16, v38
	v_mul_f16_e64 v185, v38, v125
	v_fmac_f16_e64 v185, v40, v23
	s_wait_dscnt 0x0
	v_lshrrev_b32_e32 v141, 16, v43
	v_lshrrev_b32_e32 v142, 16, v44
	v_mul_f16_e64 v186, v43, v119
	v_mul_f16_e64 v179, v44, v118
	s_delay_alu instid0(VALU_DEP_4) | instskip(NEXT) | instid1(VALU_DEP_3)
	v_mul_f16_e64 v47, v141, v119
	v_fmac_f16_e64 v186, v141, v27
	s_delay_alu instid0(VALU_DEP_3) | instskip(NEXT) | instid1(VALU_DEP_3)
	v_fmac_f16_e64 v179, v142, v20
	v_fma_f16 v176, v43, v27, -v47
	v_mul_f16_e64 v47, v142, v118
	s_delay_alu instid0(VALU_DEP_3) | instskip(NEXT) | instid1(VALU_DEP_2)
	v_sub_f16_e64 v160, v145, v179
	v_fma_f16 v177, v44, v20, -v47
	v_add_nc_u32_e32 v47, 0x1800, v49
	ds_load_2addr_b32 v[43:44], v47 offset0:130 offset1:249
	s_wait_dscnt 0x0
	v_lshrrev_b32_e32 v143, 16, v43
	v_lshrrev_b32_e32 v144, 16, v44
	v_mul_f16_e64 v187, v43, v120
	s_delay_alu instid0(VALU_DEP_3) | instskip(NEXT) | instid1(VALU_DEP_2)
	v_mul_f16_e64 v117, v143, v120
	v_fmac_f16_e64 v187, v143, v21
	s_delay_alu instid0(VALU_DEP_2) | instskip(SKIP_2) | instid1(VALU_DEP_2)
	v_fma_f16 v182, v43, v21, -v117
	v_lshrrev_b32_e32 v117, 16, v22
	v_mul_f16_e32 v43, v40, v125
	v_mul_f16_e64 v147, v144, v117
	v_mul_f16_e64 v178, v44, v117
	s_delay_alu instid0(VALU_DEP_3) | instskip(NEXT) | instid1(VALU_DEP_3)
	v_fma_f16 v180, v38, v23, -v43
	v_fma_f16 v174, v44, v22, -v147
	ds_load_2addr_b32 v[43:44], v49 offset1:119
	v_fmac_f16_e64 v178, v144, v22
	v_sub_f16_e64 v158, v135, v174
	s_delay_alu instid0(VALU_DEP_2) | instskip(NEXT) | instid1(VALU_DEP_2)
	v_sub_f16_e64 v155, v134, v178
	v_mul_f16_e64 v223, 0x3836, v158
	v_mul_f16_e64 v251, 0x3b29, v158
	s_wait_dscnt 0x0
	v_lshrrev_b32_e32 v38, 16, v44
	v_mul_f16_e64 v48, v44, v130
	s_delay_alu instid0(VALU_DEP_1) | instskip(SKIP_1) | instid1(VALU_DEP_1)
	v_fmac_f16_e32 v48, v38, v16
	v_mul_f16_e64 v38, v38, v130
	v_fma_f16 v132, v44, v16, -v38
	s_delay_alu instid0(VALU_DEP_3) | instskip(NEXT) | instid1(VALU_DEP_2)
	v_sub_f16_e64 v38, v48, v185
	v_sub_f16_e64 v157, v132, v180
	s_delay_alu instid0(VALU_DEP_2)
	v_mul_f16_e32 v40, 0xb5c8, v38
	v_mul_f16_e32 v44, 0xb964, v38
	v_mul_f16_e64 v133, 0xbb29, v38
	v_mul_f16_e64 v136, 0xbbf7, v38
	;; [unrolled: 1-line block ×6, first 2 shown]
	v_add_f16_e64 v38, v132, v180
	s_delay_alu instid0(VALU_DEP_1)
	v_fma_f16 v137, v38, 0x3b76, -v40
	v_fmac_f16_e32 v40, 0x3b76, v38
	v_fma_f16 v138, v38, 0x39e9, -v44
	v_fmac_f16_e32 v44, 0x39e9, v38
	v_fma_f16 v143, v38, 0x3722, -v133
	v_fmac_f16_e64 v133, 0x3722, v38
	v_fma_f16 v144, v38, 0x2de8, -v136
	v_fmac_f16_e64 v136, 0x2de8, v38
	;; [unrolled: 2-line block ×6, first 2 shown]
	v_add_f16_e64 v156, v137, v43
	v_add_f16_e32 v38, v40, v43
	v_add_f16_e64 v191, v138, v43
	v_add_f16_e64 v138, v44, v43
	;; [unrolled: 1-line block ×14, first 2 shown]
	v_lshrrev_b32_e32 v40, 16, v43
	v_add_f16_e64 v133, v132, v43
	v_add_f16_e64 v44, v135, v174
	v_mul_f16_e64 v43, 0xb964, v155
	v_add_f16_e64 v132, v134, v178
	s_delay_alu instid0(VALU_DEP_4) | instskip(SKIP_1) | instid1(VALU_DEP_4)
	v_add_f16_e64 v149, v133, v135
	v_mul_f16_e64 v135, 0xb964, v158
	v_fma_f16 v136, v44, 0x39e9, -v43
	s_delay_alu instid0(VALU_DEP_4)
	v_fma_f16 v224, 0xbacd, v132, v223
	v_fma_f16 v252, 0x3722, v132, v251
	v_add_f16_e64 v149, v149, v140
	v_fmac_f16_e32 v43, 0x39e9, v44
	v_add_f16_e64 v141, v136, v156
	v_add_f16_e64 v136, v48, v40
	;; [unrolled: 1-line block ×3, first 2 shown]
	v_sub_f16_e64 v156, v139, v187
	v_add_f16_e64 v192, v149, v146
	v_add_f16_e32 v38, v43, v38
	v_add_f16_e64 v142, v136, v134
	v_mul_f16_e64 v134, 0xb5c8, v157
	v_fma_f16 v136, 0x39e9, v132, v135
	s_delay_alu instid0(VALU_DEP_3) | instskip(NEXT) | instid1(VALU_DEP_3)
	v_add_f16_e64 v188, v142, v139
	v_fma_f16 v133, 0x3b76, v48, v134
	v_add_f16_e64 v139, v139, v187
	v_add_f16_e64 v142, v146, v177
	s_delay_alu instid0(VALU_DEP_4) | instskip(NEXT) | instid1(VALU_DEP_4)
	v_add_f16_e64 v193, v188, v145
	v_add_f16_e64 v133, v133, v40
	;; [unrolled: 1-line block ×3, first 2 shown]
	v_sub_f16_e64 v188, v152, v186
	s_delay_alu instid0(VALU_DEP_3) | instskip(SKIP_2) | instid1(VALU_DEP_1)
	v_add_f16_e64 v150, v136, v133
	v_add_f16_e64 v136, v140, v182
	v_mul_f16_e64 v133, 0xbb29, v156
	v_fma_f16 v159, v136, 0x3722, -v133
	v_fmac_f16_e64 v133, 0x3722, v136
	s_delay_alu instid0(VALU_DEP_2) | instskip(SKIP_1) | instid1(VALU_DEP_3)
	v_add_f16_e64 v163, v159, v141
	v_sub_f16_e64 v159, v140, v182
	v_add_f16_e64 v38, v133, v38
	s_delay_alu instid0(VALU_DEP_2) | instskip(NEXT) | instid1(VALU_DEP_1)
	v_mul_f16_e64 v140, 0xbb29, v159
	v_fma_f16 v141, 0x3722, v139, v140
	s_delay_alu instid0(VALU_DEP_1) | instskip(SKIP_1) | instid1(VALU_DEP_1)
	v_add_f16_e64 v150, v141, v150
	v_mul_f16_e64 v141, 0xbbf7, v160
	v_fma_f16 v189, v142, 0x2de8, -v141
	v_fmac_f16_e64 v141, 0x2de8, v142
	s_delay_alu instid0(VALU_DEP_2) | instskip(SKIP_1) | instid1(VALU_DEP_3)
	v_add_f16_e64 v189, v189, v163
	v_sub_f16_e64 v163, v146, v177
	v_add_f16_e64 v38, v141, v38
	s_delay_alu instid0(VALU_DEP_2) | instskip(NEXT) | instid1(VALU_DEP_1)
	v_mul_f16_e64 v146, 0xbbf7, v163
	v_fma_f16 v149, 0x2de8, v145, v146
	v_fma_f16 v43, v145, 0x2de8, -v146
	s_delay_alu instid0(VALU_DEP_2) | instskip(SKIP_2) | instid1(VALU_DEP_1)
	v_add_f16_e64 v194, v149, v150
	v_add_f16_e64 v150, v153, v176
	v_mul_f16_e64 v149, 0xbbb2, v188
	v_fma_f16 v195, v150, 0xb461, -v149
	v_fmac_f16_e64 v149, 0xb461, v150
	s_delay_alu instid0(VALU_DEP_2)
	v_add_f16_e64 v196, v195, v189
	v_add_f16_e64 v195, v192, v153
	v_sub_f16_e64 v189, v153, v176
	v_add_f16_e64 v192, v193, v152
	v_add_f16_e64 v152, v152, v186
	;; [unrolled: 1-line block ×3, first 2 shown]
	s_delay_alu instid0(VALU_DEP_4) | instskip(NEXT) | instid1(VALU_DEP_4)
	v_mul_f16_e64 v153, 0xbbb2, v189
	v_add_f16_e64 v192, v192, v164
	s_delay_alu instid0(VALU_DEP_2) | instskip(NEXT) | instid1(VALU_DEP_2)
	v_fma_f16 v193, 0xb461, v152, v153
	v_add_f16_e64 v192, v192, v166
	s_delay_alu instid0(VALU_DEP_2) | instskip(NEXT) | instid1(VALU_DEP_2)
	v_add_f16_e64 v197, v193, v194
	v_add_f16_e64 v193, v192, v183
	v_sub_f16_e64 v192, v183, v184
	v_add_f16_e64 v183, v183, v184
	s_delay_alu instid0(VALU_DEP_3)
	v_add_f16_e64 v198, v193, v184
	v_add_f16_e64 v184, v195, v165
	v_sub_f16_e64 v195, v164, v175
	v_sub_f16_e64 v193, v170, v173
	v_add_f16_e64 v164, v164, v175
	v_add_f16_e64 v198, v198, v181
	;; [unrolled: 1-line block ×3, first 2 shown]
	s_delay_alu instid0(VALU_DEP_2) | instskip(NEXT) | instid1(VALU_DEP_2)
	v_add_f16_e64 v175, v198, v175
	v_add_f16_e64 v194, v184, v170
	;; [unrolled: 1-line block ×3, first 2 shown]
	v_mul_f16_e64 v170, 0xba62, v195
	v_sub_f16_e64 v198, v165, v172
	s_delay_alu instid0(VALU_DEP_4) | instskip(SKIP_1) | instid1(VALU_DEP_3)
	v_add_f16_e64 v199, v194, v173
	v_add_f16_e64 v173, v165, v172
	v_mul_f16_e64 v165, 0xba62, v198
	s_delay_alu instid0(VALU_DEP_2) | instskip(SKIP_1) | instid1(VALU_DEP_2)
	v_fma_f16 v194, v173, 0xb8d2, -v170
	v_fmac_f16_e64 v170, 0xb8d2, v173
	v_add_f16_e64 v196, v194, v196
	v_sub_f16_e64 v194, v166, v181
	v_add_f16_e64 v166, v166, v181
	v_sub_f16_e64 v181, v167, v171
	v_add_f16_e64 v167, v167, v171
	v_add_f16_e64 v171, v199, v171
	;; [unrolled: 1-line block ×3, first 2 shown]
	s_delay_alu instid0(VALU_DEP_2) | instskip(SKIP_1) | instid1(VALU_DEP_1)
	v_add_f16_e64 v171, v171, v172
	v_fma_f16 v172, 0xb8d2, v164, v165
	v_add_f16_e64 v197, v172, v197
	v_add_f16_e64 v172, v175, v186
	s_delay_alu instid0(VALU_DEP_4) | instskip(SKIP_1) | instid1(VALU_DEP_3)
	v_add_f16_e64 v175, v171, v176
	v_mul_f16_e64 v171, 0xb836, v194
	v_add_f16_e64 v179, v172, v179
	s_delay_alu instid0(VALU_DEP_3) | instskip(SKIP_1) | instid1(VALU_DEP_4)
	v_add_f16_e64 v175, v175, v177
	v_mul_f16_e64 v172, 0xb836, v181
	v_fma_f16 v176, v167, 0xbacd, -v171
	v_fmac_f16_e64 v171, 0xbacd, v167
	v_add_f16_e64 v179, v179, v187
	v_add_f16_e64 v182, v175, v182
	v_fma_f16 v177, 0xbacd, v166, v172
	v_mul_f16_e64 v175, 0xb1e1, v192
	v_add_f16_e64 v176, v176, v196
	v_add_f16_e64 v178, v179, v178
	;; [unrolled: 1-line block ×3, first 2 shown]
	v_mul_f16_e64 v174, 0xb1e1, v193
	v_add_f16_e64 v177, v177, v197
	v_fma_f16 v186, v184, 0xbbdd, -v175
	v_add_f16_e64 v178, v178, v185
	v_add_f16_e64 v179, v179, v180
	v_fma_f16 v182, 0xbbdd, v183, v174
	v_mul_f16_e64 v180, 0xbbf7, v158
	v_add_f16_e64 v176, v186, v176
	v_mul_f16_e64 v186, 0xbb29, v157
	v_add_f16_e64 v38, v171, v38
	v_add_f16_e64 v177, v182, v177
	v_fma_f16 v182, 0x2de8, v132, v180
	v_fmac_f16_e64 v175, 0xbbdd, v184
	v_fma_f16 v187, 0x3722, v48, v186
	s_delay_alu instid0(VALU_DEP_4) | instskip(SKIP_2) | instid1(VALU_DEP_4)
	v_pack_b32_f16 v176, v176, v177
	v_lshlrev_b32_e32 v177, 16, v178
	v_and_b32_e32 v178, 0xffff, v179
	v_add_f16_e64 v187, v187, v40
	v_add_f16_e64 v38, v175, v38
	s_delay_alu instid0(VALU_DEP_3) | instskip(SKIP_4) | instid1(VALU_DEP_2)
	v_or_b32_e32 v177, v177, v178
	v_mul_f16_e64 v178, 0xb964, v157
	ds_store_2addr_b32 v49, v177, v176 offset1:119
	v_fma_f16 v179, 0x39e9, v48, v178
	v_mul_f16_e64 v176, 0xbbf7, v155
	v_add_f16_e64 v179, v179, v40
	s_delay_alu instid0(VALU_DEP_2) | instskip(SKIP_1) | instid1(VALU_DEP_3)
	v_fma_f16 v177, v44, 0x2de8, -v176
	v_fmac_f16_e64 v176, 0x2de8, v44
	v_add_f16_e64 v179, v182, v179
	v_mul_f16_e64 v182, 0xba62, v155
	s_delay_alu instid0(VALU_DEP_4) | instskip(NEXT) | instid1(VALU_DEP_2)
	v_add_f16_e64 v177, v177, v191
	v_fma_f16 v185, v44, 0xb8d2, -v182
	v_fmac_f16_e64 v182, 0xb8d2, v44
	s_delay_alu instid0(VALU_DEP_2) | instskip(SKIP_1) | instid1(VALU_DEP_1)
	v_add_f16_e64 v185, v185, v190
	v_mul_f16_e64 v190, 0xba62, v158
	v_fma_f16 v191, 0xb8d2, v132, v190
	s_delay_alu instid0(VALU_DEP_1) | instskip(SKIP_1) | instid1(VALU_DEP_1)
	v_add_f16_e64 v187, v191, v187
	v_mul_f16_e64 v191, 0xba62, v156
	v_fma_f16 v196, v136, 0xb8d2, -v191
	v_fmac_f16_e64 v191, 0xb8d2, v136
	s_delay_alu instid0(VALU_DEP_2) | instskip(SKIP_1) | instid1(VALU_DEP_1)
	v_add_f16_e64 v177, v196, v177
	v_mul_f16_e64 v196, 0xba62, v159
	v_fma_f16 v197, 0xb8d2, v139, v196
	s_delay_alu instid0(VALU_DEP_1) | instskip(SKIP_1) | instid1(VALU_DEP_1)
	v_add_f16_e64 v179, v197, v179
	v_mul_f16_e64 v197, 0x31e1, v156
	;; [unrolled: 9-line block ×11, first 2 shown]
	v_fma_f16 v217, v184, 0x3b76, -v216
	v_fmac_f16_e64 v216, 0x3b76, v184
	s_delay_alu instid0(VALU_DEP_2) | instskip(SKIP_1) | instid1(VALU_DEP_1)
	v_add_f16_e64 v177, v217, v177
	v_mul_f16_e64 v217, 0x35c8, v193
	v_fma_f16 v218, 0x3b76, v183, v217
	s_delay_alu instid0(VALU_DEP_1) | instskip(SKIP_1) | instid1(VALU_DEP_2)
	v_add_f16_e64 v179, v218, v179
	v_mul_f16_e64 v218, 0xb836, v192
	v_pack_b32_f16 v177, v177, v179
	s_delay_alu instid0(VALU_DEP_2) | instskip(SKIP_1) | instid1(VALU_DEP_2)
	v_fma_f16 v219, v184, 0xbacd, -v218
	v_fmac_f16_e64 v218, 0xbacd, v184
	v_add_f16_e64 v185, v219, v185
	v_mul_f16_e64 v219, 0xb836, v193
	s_delay_alu instid0(VALU_DEP_1) | instskip(NEXT) | instid1(VALU_DEP_1)
	v_fma_f16 v220, 0xbacd, v183, v219
	v_add_f16_e64 v187, v220, v187
	s_delay_alu instid0(VALU_DEP_1) | instskip(SKIP_4) | instid1(VALU_DEP_2)
	v_pack_b32_f16 v179, v185, v187
	v_mul_f16_e64 v187, 0xb1e1, v158
	ds_store_2addr_b32 v37, v177, v179 offset0:110 offset1:229
	v_mul_f16_e64 v177, 0xb1e1, v155
	v_fma_f16 v220, 0xbbdd, v132, v187
	v_fma_f16 v179, v44, 0xbbdd, -v177
	v_fmac_f16_e64 v177, 0xbbdd, v44
	s_delay_alu instid0(VALU_DEP_2) | instskip(SKIP_1) | instid1(VALU_DEP_1)
	v_add_f16_e64 v169, v179, v169
	v_mul_f16_e64 v179, 0xbbf7, v157
	v_fma_f16 v185, 0x2de8, v48, v179
	s_delay_alu instid0(VALU_DEP_1) | instskip(NEXT) | instid1(VALU_DEP_1)
	v_add_f16_e64 v185, v185, v40
	v_add_f16_e64 v185, v220, v185
	v_mul_f16_e64 v220, 0x3836, v155
	s_delay_alu instid0(VALU_DEP_1) | instskip(SKIP_1) | instid1(VALU_DEP_2)
	v_fma_f16 v221, v44, 0xbacd, -v220
	v_fmac_f16_e64 v220, 0xbacd, v44
	v_add_f16_e64 v168, v221, v168
	v_mul_f16_e64 v221, 0xbbb2, v157
	s_delay_alu instid0(VALU_DEP_1) | instskip(NEXT) | instid1(VALU_DEP_1)
	v_fma_f16 v222, 0xb461, v48, v221
	v_add_f16_e64 v222, v222, v40
	s_delay_alu instid0(VALU_DEP_1) | instskip(SKIP_1) | instid1(VALU_DEP_1)
	v_add_f16_e64 v222, v224, v222
	v_mul_f16_e64 v224, 0x3bb2, v156
	v_fma_f16 v225, v136, 0xb461, -v224
	v_fmac_f16_e64 v224, 0xb461, v136
	s_delay_alu instid0(VALU_DEP_2) | instskip(SKIP_1) | instid1(VALU_DEP_1)
	v_add_f16_e64 v169, v225, v169
	v_mul_f16_e64 v225, 0x3bb2, v159
	v_fma_f16 v226, 0xb461, v139, v225
	s_delay_alu instid0(VALU_DEP_1) | instskip(SKIP_1) | instid1(VALU_DEP_1)
	v_add_f16_e64 v185, v226, v185
	v_mul_f16_e64 v226, 0x3964, v156
	v_fma_f16 v227, v136, 0x39e9, -v226
	v_fmac_f16_e64 v226, 0x39e9, v136
	s_delay_alu instid0(VALU_DEP_2) | instskip(SKIP_1) | instid1(VALU_DEP_1)
	v_add_f16_e64 v168, v227, v168
	v_mul_f16_e64 v227, 0x3964, v159
	v_fma_f16 v228, 0x39e9, v139, v227
	;; [unrolled: 9-line block ×11, first 2 shown]
	s_delay_alu instid0(VALU_DEP_1) | instskip(SKIP_1) | instid1(VALU_DEP_2)
	v_add_f16_e64 v185, v246, v185
	v_mul_f16_e64 v246, 0xba62, v192
	v_pack_b32_f16 v169, v169, v185
	s_delay_alu instid0(VALU_DEP_2) | instskip(SKIP_1) | instid1(VALU_DEP_2)
	v_fma_f16 v247, v184, 0xb8d2, -v246
	v_fmac_f16_e64 v246, 0xb8d2, v184
	v_add_f16_e64 v168, v247, v168
	v_mul_f16_e64 v247, 0xba62, v193
	s_delay_alu instid0(VALU_DEP_1) | instskip(NEXT) | instid1(VALU_DEP_1)
	v_fma_f16 v248, 0xb8d2, v183, v247
	v_add_f16_e64 v222, v248, v222
	s_delay_alu instid0(VALU_DEP_1) | instskip(SKIP_4) | instid1(VALU_DEP_2)
	v_pack_b32_f16 v168, v168, v222
	v_mul_f16_e64 v222, 0x3bb2, v158
	ds_store_2addr_b32 v39, v169, v168 offset0:92 offset1:211
	v_mul_f16_e64 v168, 0x3bb2, v155
	v_fma_f16 v248, 0xb461, v132, v222
	v_fma_f16 v169, v44, 0xb461, -v168
	v_fmac_f16_e64 v168, 0xb461, v44
	s_delay_alu instid0(VALU_DEP_2) | instskip(SKIP_1) | instid1(VALU_DEP_1)
	v_add_f16_e64 v162, v169, v162
	v_mul_f16_e64 v169, 0xba62, v157
	v_fma_f16 v185, 0xb8d2, v48, v169
	s_delay_alu instid0(VALU_DEP_1) | instskip(NEXT) | instid1(VALU_DEP_1)
	v_add_f16_e64 v185, v185, v40
	v_add_f16_e64 v185, v248, v185
	v_mul_f16_e64 v248, 0x3b29, v155
	s_delay_alu instid0(VALU_DEP_1) | instskip(SKIP_1) | instid1(VALU_DEP_2)
	v_fma_f16 v249, v44, 0x3722, -v248
	v_fmac_f16_e64 v248, 0x3722, v44
	v_add_f16_e64 v161, v249, v161
	v_mul_f16_e64 v249, 0xb836, v157
	s_delay_alu instid0(VALU_DEP_1) | instskip(NEXT) | instid1(VALU_DEP_1)
	v_fma_f16 v250, 0xbacd, v48, v249
	v_add_f16_e64 v250, v250, v40
	s_delay_alu instid0(VALU_DEP_1) | instskip(SKIP_1) | instid1(VALU_DEP_1)
	v_add_f16_e64 v250, v252, v250
	v_mul_f16_e64 v252, 0xb5c8, v156
	v_fma_f16 v253, v136, 0x3b76, -v252
	v_fmac_f16_e64 v252, 0x3b76, v136
	s_delay_alu instid0(VALU_DEP_2) | instskip(SKIP_1) | instid1(VALU_DEP_1)
	v_add_f16_e64 v162, v253, v162
	v_mul_f16_e64 v253, 0xb5c8, v159
	v_fma_f16 v254, 0x3b76, v139, v253
	s_delay_alu instid0(VALU_DEP_1) | instskip(SKIP_1) | instid1(VALU_DEP_1)
	v_add_f16_e64 v185, v254, v185
	v_mul_f16_e64 v254, 0xbbf7, v156
	v_fma_f16 v255, v136, 0x2de8, -v254
	v_fmac_f16_e64 v254, 0x2de8, v136
	s_delay_alu instid0(VALU_DEP_2) | instskip(SKIP_1) | instid1(VALU_DEP_1)
	v_add_f16_e64 v161, v255, v161
	v_mul_f16_e64 v255, 0xbbf7, v159
	v_fma_f16 v52, 0x2de8, v139, v255
	;; [unrolled: 9-line block ×4, first 2 shown]
	s_delay_alu instid0(VALU_DEP_1) | instskip(SKIP_1) | instid1(VALU_DEP_1)
	v_add_f16_e32 v52, v59, v52
	v_mul_f16_e64 v59, 0x3bf7, v188
	v_fma_f16 v62, v150, 0x2de8, -v59
	v_fmac_f16_e64 v59, 0x2de8, v150
	s_delay_alu instid0(VALU_DEP_2) | instskip(SKIP_1) | instid1(VALU_DEP_1)
	v_add_f16_e32 v53, v62, v53
	v_mul_f16_e64 v62, 0x3bf7, v189
	v_fma_f16 v64, 0x2de8, v152, v62
	s_delay_alu instid0(VALU_DEP_1) | instskip(SKIP_1) | instid1(VALU_DEP_1)
	v_add_f16_e32 v55, v64, v55
	v_mul_f16_e64 v64, 0xb5c8, v188
	v_fma_f16 v66, v150, 0x3b76, -v64
	v_fmac_f16_e64 v64, 0x3b76, v150
	s_delay_alu instid0(VALU_DEP_2) | instskip(SKIP_1) | instid1(VALU_DEP_1)
	v_add_f16_e32 v57, v66, v57
	v_mul_f16_e64 v66, 0xb5c8, v189
	v_fma_f16 v68, 0x3b76, v152, v66
	;; [unrolled: 9-line block ×7, first 2 shown]
	s_delay_alu instid0(VALU_DEP_1) | instskip(SKIP_1) | instid1(VALU_DEP_2)
	v_add_f16_e32 v55, v87, v55
	v_mul_f16_e64 v87, 0xbbb2, v192
	v_pack_b32_f16 v53, v53, v55
	s_delay_alu instid0(VALU_DEP_2) | instskip(SKIP_2) | instid1(VALU_DEP_3)
	v_fma_f16 v88, v184, 0xb461, -v87
	v_mul_f16_e64 v55, 0xb1e1, v157
	v_fmac_f16_e64 v87, 0xb461, v184
	v_add_f16_e32 v57, v88, v57
	v_mul_f16_e64 v88, 0xbbb2, v193
	s_delay_alu instid0(VALU_DEP_1) | instskip(NEXT) | instid1(VALU_DEP_1)
	v_fma_f16 v89, 0xb461, v183, v88
	v_add_f16_e32 v52, v89, v52
	v_fmamk_f16 v89, v48, 0xbbdd, v55
	v_fma_f16 v55, v48, 0xbbdd, -v55
	s_delay_alu instid0(VALU_DEP_3) | instskip(SKIP_1) | instid1(VALU_DEP_3)
	v_pack_b32_f16 v52, v57, v52
	v_mul_f16_e64 v57, 0x35c8, v158
	v_add_f16_e32 v55, v55, v40
	v_add_f16_e32 v89, v89, v40
	ds_store_2addr_b32 v41, v53, v52 offset0:74 offset1:193
	v_mul_f16_e64 v52, 0x35c8, v155
	s_delay_alu instid0(VALU_DEP_1) | instskip(SKIP_2) | instid1(VALU_DEP_3)
	v_fma_f16 v53, v44, 0x3b76, -v52
	v_fmac_f16_e32 v52, 0x3b76, v44
	v_fma_f16 v44, v132, 0x39e9, -v135
	v_add_f16_e64 v53, v53, v154
	v_fma_f16 v154, 0x3b76, v132, v57
	v_fma_f16 v57, v132, 0x3b76, -v57
	v_add_f16_e64 v52, v52, v151
	s_delay_alu instid0(VALU_DEP_3) | instskip(NEXT) | instid1(VALU_DEP_3)
	v_add_f16_e64 v89, v154, v89
	v_add_f16_e32 v55, v57, v55
	v_mul_f16_e64 v57, 0xb836, v156
	s_delay_alu instid0(VALU_DEP_1) | instskip(SKIP_1) | instid1(VALU_DEP_2)
	v_fma_f16 v151, v136, 0xbacd, -v57
	v_fmac_f16_e64 v57, 0xbacd, v136
	v_add_f16_e64 v53, v151, v53
	v_mul_f16_e64 v151, 0xb836, v159
	s_delay_alu instid0(VALU_DEP_3) | instskip(NEXT) | instid1(VALU_DEP_2)
	v_add_f16_e32 v52, v57, v52
	v_fma_f16 v57, v139, 0xbacd, -v151
	v_fma_f16 v154, 0xbacd, v139, v151
	s_delay_alu instid0(VALU_DEP_2) | instskip(SKIP_1) | instid1(VALU_DEP_3)
	v_add_f16_e32 v55, v57, v55
	v_mul_f16_e64 v57, 0x3964, v160
	v_add_f16_e64 v89, v154, v89
	s_delay_alu instid0(VALU_DEP_2) | instskip(SKIP_1) | instid1(VALU_DEP_2)
	v_fma_f16 v151, v142, 0x39e9, -v57
	v_fmac_f16_e64 v57, 0x39e9, v142
	v_add_f16_e64 v53, v151, v53
	v_mul_f16_e64 v151, 0x3964, v163
	s_delay_alu instid0(VALU_DEP_3) | instskip(NEXT) | instid1(VALU_DEP_2)
	v_add_f16_e32 v52, v57, v52
	v_fma_f16 v57, v145, 0x39e9, -v151
	v_fma_f16 v154, 0x39e9, v145, v151
	s_delay_alu instid0(VALU_DEP_2) | instskip(SKIP_1) | instid1(VALU_DEP_3)
	v_add_f16_e32 v55, v57, v55
	v_mul_f16_e64 v57, 0xba62, v188
	v_add_f16_e64 v89, v154, v89
	s_delay_alu instid0(VALU_DEP_2) | instskip(SKIP_1) | instid1(VALU_DEP_2)
	;; [unrolled: 13-line block ×5, first 2 shown]
	v_fma_f16 v151, v184, 0x2de8, -v57
	v_fmac_f16_e64 v57, 0x2de8, v184
	v_add_f16_e64 v53, v151, v53
	v_mul_f16_e64 v151, 0x3bf7, v193
	s_delay_alu instid0(VALU_DEP_3) | instskip(NEXT) | instid1(VALU_DEP_2)
	v_add_f16_e32 v52, v57, v52
	v_fma_f16 v154, 0x2de8, v183, v151
	v_fma_f16 v57, v183, 0x2de8, -v151
	s_delay_alu instid0(VALU_DEP_2) | instskip(NEXT) | instid1(VALU_DEP_2)
	v_add_f16_e64 v89, v154, v89
	v_add_f16_e32 v55, v57, v55
	v_fma_f16 v57, v48, 0xbacd, -v249
	s_delay_alu instid0(VALU_DEP_3) | instskip(NEXT) | instid1(VALU_DEP_3)
	v_pack_b32_f16 v53, v53, v89
	v_pack_b32_f16 v52, v52, v55
	v_fma_f16 v55, v132, 0xb461, -v222
	v_fma_f16 v89, v132, 0x3722, -v251
	v_add_f16_e32 v57, v57, v40
	ds_store_2addr_b32 v46, v53, v52 offset0:56 offset1:175
	v_fma_f16 v53, v48, 0xb8d2, -v169
	v_add_f16_e64 v52, v168, v148
	v_add_f16_e32 v57, v89, v57
	v_fma_f16 v89, v139, 0x3b76, -v253
	s_delay_alu instid0(VALU_DEP_4) | instskip(NEXT) | instid1(VALU_DEP_4)
	v_add_f16_e32 v53, v53, v40
	v_add_f16_e64 v52, v252, v52
	s_delay_alu instid0(VALU_DEP_2) | instskip(NEXT) | instid1(VALU_DEP_2)
	v_add_f16_e32 v53, v55, v53
	v_add_f16_e64 v52, v250, v52
	v_add_f16_e64 v55, v248, v147
	s_delay_alu instid0(VALU_DEP_3) | instskip(SKIP_1) | instid1(VALU_DEP_4)
	v_add_f16_e32 v53, v89, v53
	v_fma_f16 v89, v139, 0x2de8, -v255
	v_add_f16_e32 v52, v59, v52
	v_fma_f16 v59, v152, 0x2de8, -v62
	v_add_f16_e64 v55, v254, v55
	s_delay_alu instid0(VALU_DEP_4) | instskip(SKIP_2) | instid1(VALU_DEP_4)
	v_add_f16_e32 v57, v89, v57
	v_fma_f16 v89, v145, 0xbacd, -v162
	v_add_f16_e32 v52, v68, v52
	v_add_f16_e64 v55, v185, v55
	s_delay_alu instid0(VALU_DEP_3) | instskip(SKIP_1) | instid1(VALU_DEP_3)
	v_add_f16_e32 v53, v89, v53
	v_fma_f16 v89, v145, 0xb8d2, -v161
	v_add_f16_e32 v55, v64, v55
	v_add_f16_e32 v52, v77, v52
	s_delay_alu instid0(VALU_DEP_4) | instskip(NEXT) | instid1(VALU_DEP_4)
	v_add_f16_e32 v53, v59, v53
	v_add_f16_e32 v57, v89, v57
	v_fma_f16 v59, v152, 0x3b76, -v66
	v_add_f16_e32 v55, v72, v55
	v_add_f16_e32 v52, v83, v52
	s_delay_alu instid0(VALU_DEP_3) | instskip(SKIP_1) | instid1(VALU_DEP_4)
	v_add_f16_e32 v57, v59, v57
	v_fma_f16 v59, v164, 0x39e9, -v70
	v_add_f16_e32 v55, v79, v55
	s_delay_alu instid0(VALU_DEP_2) | instskip(SKIP_1) | instid1(VALU_DEP_3)
	v_add_f16_e32 v53, v59, v53
	v_fma_f16 v59, v164, 0xbbdd, -v74
	v_add_f16_e32 v55, v87, v55
	s_delay_alu instid0(VALU_DEP_2) | instskip(SKIP_1) | instid1(VALU_DEP_1)
	v_add_f16_e32 v57, v59, v57
	v_fma_f16 v59, v166, 0xbbdd, -v85
	v_add_f16_e32 v53, v59, v53
	v_fma_f16 v59, v166, 0x39e9, -v82
	s_delay_alu instid0(VALU_DEP_1) | instskip(SKIP_1) | instid1(VALU_DEP_1)
	v_add_f16_e32 v57, v59, v57
	v_fma_f16 v59, v183, 0xb461, -v88
	v_add_f16_e32 v57, v59, v57
	v_fma_f16 v59, v183, 0x3722, -v84
	s_delay_alu instid0(VALU_DEP_2) | instskip(NEXT) | instid1(VALU_DEP_2)
	v_pack_b32_f16 v55, v55, v57
	v_add_f16_e32 v53, v59, v53
	v_fma_f16 v57, v48, 0xb461, -v221
	v_fma_f16 v59, v132, 0xbacd, -v223
	s_delay_alu instid0(VALU_DEP_3) | instskip(SKIP_1) | instid1(VALU_DEP_4)
	v_pack_b32_f16 v52, v52, v53
	v_fma_f16 v53, v48, 0x2de8, -v179
	v_add_f16_e32 v57, v57, v40
	ds_store_2addr_b32 v42, v55, v52 offset0:38 offset1:157
	v_fma_f16 v55, v132, 0xbbdd, -v187
	v_add_f16_e32 v53, v53, v40
	v_add_f16_e32 v57, v59, v57
	v_fma_f16 v59, v139, 0xb461, -v225
	v_add_f16_e64 v52, v177, v144
	s_delay_alu instid0(VALU_DEP_4) | instskip(SKIP_1) | instid1(VALU_DEP_3)
	v_add_f16_e32 v53, v55, v53
	v_add_f16_e64 v55, v220, v143
	v_add_f16_e64 v52, v224, v52
	s_delay_alu instid0(VALU_DEP_3) | instskip(SKIP_1) | instid1(VALU_DEP_4)
	v_add_f16_e32 v53, v59, v53
	v_fma_f16 v59, v139, 0x39e9, -v227
	v_add_f16_e64 v55, v226, v55
	s_delay_alu instid0(VALU_DEP_4) | instskip(NEXT) | instid1(VALU_DEP_3)
	v_add_f16_e64 v52, v228, v52
	v_add_f16_e32 v57, v59, v57
	v_fma_f16 v59, v145, 0x3b76, -v229
	s_delay_alu instid0(VALU_DEP_4) | instskip(NEXT) | instid1(VALU_DEP_4)
	v_add_f16_e64 v55, v230, v55
	v_add_f16_e64 v52, v232, v52
	s_delay_alu instid0(VALU_DEP_3) | instskip(SKIP_1) | instid1(VALU_DEP_4)
	v_add_f16_e32 v53, v59, v53
	v_fma_f16 v59, v145, 0x3722, -v231
	v_add_f16_e64 v55, v234, v55
	s_delay_alu instid0(VALU_DEP_4) | instskip(NEXT) | instid1(VALU_DEP_3)
	v_add_f16_e64 v52, v236, v52
	v_add_f16_e32 v57, v59, v57
	v_fma_f16 v59, v152, 0x3722, -v233
	s_delay_alu instid0(VALU_DEP_4) | instskip(NEXT) | instid1(VALU_DEP_4)
	v_add_f16_e64 v55, v238, v55
	v_add_f16_e64 v52, v240, v52
	s_delay_alu instid0(VALU_DEP_3) | instskip(SKIP_1) | instid1(VALU_DEP_4)
	v_add_f16_e32 v53, v59, v53
	v_fma_f16 v59, v152, 0xbbdd, -v235
	v_add_f16_e64 v55, v242, v55
	s_delay_alu instid0(VALU_DEP_4) | instskip(NEXT) | instid1(VALU_DEP_3)
	v_add_f16_e64 v52, v244, v52
	v_add_f16_e32 v57, v59, v57
	v_fma_f16 v59, v164, 0xbacd, -v237
	s_delay_alu instid0(VALU_DEP_4) | instskip(NEXT) | instid1(VALU_DEP_2)
	v_add_f16_e64 v55, v246, v55
	v_add_f16_e32 v53, v59, v53
	v_fma_f16 v59, v164, 0x2de8, -v239
	s_delay_alu instid0(VALU_DEP_1) | instskip(SKIP_1) | instid1(VALU_DEP_1)
	v_add_f16_e32 v57, v59, v57
	v_fma_f16 v59, v166, 0xb8d2, -v241
	v_add_f16_e32 v53, v59, v53
	v_fma_f16 v59, v166, 0x3b76, -v243
	s_delay_alu instid0(VALU_DEP_1) | instskip(SKIP_1) | instid1(VALU_DEP_1)
	v_add_f16_e32 v57, v59, v57
	v_fma_f16 v59, v183, 0xb8d2, -v247
	v_add_f16_e32 v57, v59, v57
	v_fma_f16 v59, v183, 0x39e9, -v245
	s_delay_alu instid0(VALU_DEP_2) | instskip(NEXT) | instid1(VALU_DEP_2)
	v_pack_b32_f16 v55, v55, v57
	v_add_f16_e32 v53, v59, v53
	v_fma_f16 v57, v48, 0x3722, -v186
	v_fma_f16 v59, v132, 0xb8d2, -v190
	s_delay_alu instid0(VALU_DEP_3) | instskip(SKIP_1) | instid1(VALU_DEP_4)
	v_pack_b32_f16 v52, v52, v53
	v_fma_f16 v53, v48, 0x39e9, -v178
	v_add_f16_e32 v57, v57, v40
	v_fma_f16 v48, v48, 0x3b76, -v134
	ds_store_2addr_b32 v131, v55, v52 offset0:20 offset1:139
	v_fma_f16 v55, v132, 0x2de8, -v180
	v_add_f16_e32 v53, v53, v40
	v_add_f16_e32 v57, v59, v57
	v_fma_f16 v59, v139, 0xb8d2, -v196
	v_add_f16_e32 v40, v48, v40
	v_add_f16_e64 v52, v176, v138
	v_add_f16_e32 v53, v55, v53
	v_add_f16_e64 v55, v182, v137
	v_fma_f16 v48, v139, 0x3722, -v140
	v_add_f16_e32 v40, v44, v40
	v_add_f16_e64 v52, v191, v52
	v_add_f16_e32 v53, v59, v53
	v_fma_f16 v59, v139, 0xbbdd, -v199
	v_add_f16_e64 v55, v197, v55
	v_add_f16_e32 v40, v48, v40
	v_add_f16_e64 v52, v200, v52
	s_delay_alu instid0(VALU_DEP_4)
	v_add_f16_e32 v57, v59, v57
	v_fma_f16 v59, v145, 0xbbdd, -v201
	v_add_f16_e64 v55, v202, v55
	v_add_f16_e32 v40, v43, v40
	v_fma_f16 v43, v152, 0xb461, -v153
	v_add_f16_e64 v52, v204, v52
	;; [unrolled: 3-line block ×9, first 2 shown]
	v_add_f16_e32 v40, v43, v40
	s_delay_alu instid0(VALU_DEP_3) | instskip(SKIP_1) | instid1(VALU_DEP_3)
	v_add_f16_e32 v53, v59, v53
	v_fma_f16 v59, v164, 0x3b76, -v211
	v_pack_b32_f16 v38, v38, v40
	s_delay_alu instid0(VALU_DEP_2) | instskip(SKIP_4) | instid1(VALU_DEP_1)
	v_add_f16_e32 v57, v59, v57
	v_fma_f16 v59, v166, 0x3722, -v213
	ds_store_b32 v49, v38 offset:7616
	v_add_f16_e32 v53, v59, v53
	v_fma_f16 v59, v166, 0x2de8, -v215
	v_add_f16_e32 v57, v59, v57
	v_fma_f16 v59, v183, 0xbacd, -v219
	s_delay_alu instid0(VALU_DEP_1) | instskip(SKIP_1) | instid1(VALU_DEP_2)
	v_add_f16_e32 v57, v59, v57
	v_fma_f16 v59, v183, 0x3b76, -v217
	v_pack_b32_f16 v55, v55, v57
	s_delay_alu instid0(VALU_DEP_2) | instskip(NEXT) | instid1(VALU_DEP_1)
	v_add_f16_e32 v53, v59, v53
	v_pack_b32_f16 v52, v52, v53
	ds_store_2addr_b32 v47, v55, v52 offset0:130 offset1:249
	global_wb scope:SCOPE_SE
	s_wait_dscnt 0x0
	s_barrier_signal -1
	s_barrier_wait -1
	global_inv scope:SCOPE_SE
	s_clause 0x7
	global_load_b32 v38, v[35:36], off offset:8092
	global_load_b32 v40, v49, s[0:1] offset:476
	global_load_b32 v43, v49, s[0:1] offset:1428
	;; [unrolled: 1-line block ×7, first 2 shown]
	ds_load_2addr_b32 v[35:36], v49 offset1:119
	s_wait_dscnt 0x0
	v_lshrrev_b32_e32 v59, 16, v35
	s_wait_loadcnt 0x7
	v_lshrrev_b32_e32 v57, 16, v38
	s_delay_alu instid0(VALU_DEP_1) | instskip(NEXT) | instid1(VALU_DEP_3)
	v_mul_f16_e32 v62, v35, v57
	v_mul_f16_e32 v57, v59, v57
	s_delay_alu instid0(VALU_DEP_2) | instskip(NEXT) | instid1(VALU_DEP_2)
	v_fmac_f16_e32 v62, v59, v38
	v_fma_f16 v35, v35, v38, -v57
	v_lshrrev_b32_e32 v38, 16, v36
	s_wait_loadcnt 0x6
	v_lshrrev_b32_e32 v57, 16, v40
	s_delay_alu instid0(VALU_DEP_3) | instskip(NEXT) | instid1(VALU_DEP_2)
	v_pack_b32_f16 v35, v35, v62
	v_mul_f16_e32 v59, v38, v57
	v_mul_f16_e32 v57, v36, v57
	s_delay_alu instid0(VALU_DEP_2) | instskip(NEXT) | instid1(VALU_DEP_2)
	v_fma_f16 v36, v36, v40, -v59
	v_fmac_f16_e32 v57, v38, v40
	s_delay_alu instid0(VALU_DEP_1)
	v_pack_b32_f16 v36, v36, v57
	ds_store_2addr_b32 v49, v35, v36 offset1:119
	s_clause 0x6
	global_load_b32 v38, v49, s[0:1] offset:952
	global_load_b32 v40, v49, s[0:1] offset:1904
	;; [unrolled: 1-line block ×7, first 2 shown]
	ds_load_2addr_b32 v[35:36], v37 offset0:110 offset1:229
	ds_load_b32 v68, v49 offset:7616
	s_wait_dscnt 0x1
	v_lshrrev_b32_e32 v72, 16, v35
	s_wait_loadcnt 0x6
	v_lshrrev_b32_e32 v70, 16, v38
	s_delay_alu instid0(VALU_DEP_1) | instskip(NEXT) | instid1(VALU_DEP_3)
	v_mul_f16_e32 v74, v35, v70
	v_mul_f16_e32 v70, v72, v70
	s_delay_alu instid0(VALU_DEP_2) | instskip(NEXT) | instid1(VALU_DEP_2)
	v_fmac_f16_e32 v74, v72, v38
	v_fma_f16 v35, v35, v38, -v70
	v_lshrrev_b32_e32 v38, 16, v36
	v_lshrrev_b32_e32 v70, 16, v43
	s_delay_alu instid0(VALU_DEP_3) | instskip(NEXT) | instid1(VALU_DEP_2)
	v_pack_b32_f16 v35, v35, v74
	v_mul_f16_e32 v72, v38, v70
	v_mul_f16_e32 v70, v36, v70
	s_delay_alu instid0(VALU_DEP_2) | instskip(NEXT) | instid1(VALU_DEP_2)
	v_fma_f16 v36, v36, v43, -v72
	v_fmac_f16_e32 v70, v38, v43
	s_wait_loadcnt 0x5
	v_lshrrev_b32_e32 v38, 16, v40
	s_delay_alu instid0(VALU_DEP_2)
	v_pack_b32_f16 v36, v36, v70
	ds_store_2addr_b32 v37, v35, v36 offset0:110 offset1:229
	ds_load_2addr_b32 v[35:36], v39 offset0:92 offset1:211
	s_wait_dscnt 0x0
	v_lshrrev_b32_e32 v43, 16, v35
	v_mul_f16_e32 v70, v35, v38
	s_delay_alu instid0(VALU_DEP_2) | instskip(NEXT) | instid1(VALU_DEP_2)
	v_mul_f16_e32 v38, v43, v38
	v_fmac_f16_e32 v70, v43, v40
	s_delay_alu instid0(VALU_DEP_2) | instskip(SKIP_2) | instid1(VALU_DEP_3)
	v_fma_f16 v38, v35, v40, -v38
	v_lshrrev_b32_e32 v35, 16, v36
	v_lshrrev_b32_e32 v40, 16, v44
	v_pack_b32_f16 v38, v38, v70
	s_delay_alu instid0(VALU_DEP_2) | instskip(SKIP_1) | instid1(VALU_DEP_2)
	v_mul_f16_e32 v43, v35, v40
	v_mul_f16_e32 v40, v36, v40
	v_fma_f16 v43, v36, v44, -v43
	s_delay_alu instid0(VALU_DEP_2)
	v_fmac_f16_e32 v40, v35, v44
	ds_load_2addr_b32 v[35:36], v41 offset0:74 offset1:193
	s_wait_loadcnt 0x4
	v_lshrrev_b32_e32 v44, 16, v57
	v_pack_b32_f16 v40, v43, v40
	ds_store_2addr_b32 v39, v38, v40 offset0:92 offset1:211
	s_wait_loadcnt 0x3
	v_lshrrev_b32_e32 v38, 16, v59
	s_wait_dscnt 0x1
	v_lshrrev_b32_e32 v72, 16, v35
	v_mul_f16_e32 v74, v35, v44
	s_delay_alu instid0(VALU_DEP_2) | instskip(NEXT) | instid1(VALU_DEP_2)
	v_mul_f16_e32 v44, v72, v44
	v_fmac_f16_e32 v74, v72, v57
	s_delay_alu instid0(VALU_DEP_2) | instskip(SKIP_2) | instid1(VALU_DEP_3)
	v_fma_f16 v35, v35, v57, -v44
	v_lshrrev_b32_e32 v44, 16, v36
	v_lshrrev_b32_e32 v57, 16, v48
	v_pack_b32_f16 v35, v35, v74
	s_delay_alu instid0(VALU_DEP_2) | instskip(SKIP_1) | instid1(VALU_DEP_2)
	v_mul_f16_e32 v72, v44, v57
	v_mul_f16_e32 v57, v36, v57
	v_fma_f16 v36, v36, v48, -v72
	s_delay_alu instid0(VALU_DEP_2) | instskip(SKIP_2) | instid1(VALU_DEP_2)
	v_fmac_f16_e32 v57, v44, v48
	s_wait_loadcnt 0x2
	v_lshrrev_b32_e32 v48, 16, v62
	v_pack_b32_f16 v36, v36, v57
	ds_store_2addr_b32 v41, v35, v36 offset0:74 offset1:193
	ds_load_2addr_b32 v[35:36], v46 offset0:56 offset1:175
	s_wait_dscnt 0x0
	v_lshrrev_b32_e32 v40, 16, v35
	v_mul_f16_e32 v43, v35, v38
	s_delay_alu instid0(VALU_DEP_2) | instskip(NEXT) | instid1(VALU_DEP_2)
	v_mul_f16_e32 v38, v40, v38
	v_fmac_f16_e32 v43, v40, v59
	v_lshrrev_b32_e32 v40, 16, v52
	s_delay_alu instid0(VALU_DEP_3) | instskip(SKIP_1) | instid1(VALU_DEP_2)
	v_fma_f16 v38, v35, v59, -v38
	v_lshrrev_b32_e32 v35, 16, v36
	v_pack_b32_f16 v38, v38, v43
	s_delay_alu instid0(VALU_DEP_2) | instskip(SKIP_1) | instid1(VALU_DEP_2)
	v_mul_f16_e32 v44, v35, v40
	v_mul_f16_e32 v40, v36, v40
	v_fma_f16 v44, v36, v52, -v44
	s_delay_alu instid0(VALU_DEP_2)
	v_fmac_f16_e32 v40, v35, v52
	ds_load_2addr_b32 v[35:36], v42 offset0:38 offset1:157
	v_pack_b32_f16 v40, v44, v40
	s_wait_dscnt 0x0
	v_lshrrev_b32_e32 v52, 16, v35
	v_mul_f16_e32 v57, v35, v48
	s_delay_alu instid0(VALU_DEP_2) | instskip(NEXT) | instid1(VALU_DEP_2)
	v_mul_f16_e32 v48, v52, v48
	v_fmac_f16_e32 v57, v52, v62
	v_lshrrev_b32_e32 v52, 16, v53
	s_delay_alu instid0(VALU_DEP_3) | instskip(SKIP_1) | instid1(VALU_DEP_1)
	v_fma_f16 v48, v35, v62, -v48
	v_lshrrev_b32_e32 v35, 16, v36
	v_mul_f16_e32 v59, v35, v52
	v_mul_f16_e32 v52, v36, v52
	s_delay_alu instid0(VALU_DEP_2) | instskip(NEXT) | instid1(VALU_DEP_2)
	v_fma_f16 v59, v36, v53, -v59
	v_fmac_f16_e32 v52, v35, v53
	ds_load_2addr_b32 v[35:36], v131 offset0:20 offset1:139
	s_wait_loadcnt 0x1
	v_lshrrev_b32_e32 v53, 16, v64
	s_wait_dscnt 0x0
	v_lshrrev_b32_e32 v62, 16, v35
	s_delay_alu instid0(VALU_DEP_2) | instskip(NEXT) | instid1(VALU_DEP_2)
	v_mul_f16_e32 v70, v35, v53
	v_mul_f16_e32 v53, v62, v53
	s_delay_alu instid0(VALU_DEP_2) | instskip(SKIP_1) | instid1(VALU_DEP_3)
	v_fmac_f16_e32 v70, v62, v64
	v_lshrrev_b32_e32 v62, 16, v55
	v_fma_f16 v53, v35, v64, -v53
	v_lshrrev_b32_e32 v35, 16, v36
	s_delay_alu instid0(VALU_DEP_1) | instskip(SKIP_1) | instid1(VALU_DEP_2)
	v_mul_f16_e32 v64, v35, v62
	v_mul_f16_e32 v62, v36, v62
	v_fma_f16 v64, v36, v55, -v64
	s_delay_alu instid0(VALU_DEP_2)
	v_fmac_f16_e32 v62, v35, v55
	ds_load_2addr_b32 v[35:36], v47 offset0:130 offset1:249
	s_wait_loadcnt 0x0
	v_lshrrev_b32_e32 v55, 16, v66
	s_wait_dscnt 0x0
	v_lshrrev_b32_e32 v72, 16, v35
	s_delay_alu instid0(VALU_DEP_2) | instskip(NEXT) | instid1(VALU_DEP_2)
	v_mul_f16_e32 v74, v35, v55
	v_mul_f16_e32 v55, v72, v55
	s_delay_alu instid0(VALU_DEP_2) | instskip(SKIP_1) | instid1(VALU_DEP_3)
	v_fmac_f16_e32 v74, v72, v66
	v_lshrrev_b32_e32 v72, 16, v36
	v_fma_f16 v35, v35, v66, -v55
	s_clause 0x1
	global_load_b32 v55, v49, s[0:1] offset:7140
	global_load_b32 v66, v49, s[0:1] offset:7616
	ds_store_2addr_b32 v46, v38, v40 offset0:56 offset1:175
	v_pack_b32_f16 v38, v48, v57
	v_pack_b32_f16 v40, v59, v52
	;; [unrolled: 1-line block ×3, first 2 shown]
	ds_store_2addr_b32 v42, v38, v40 offset0:38 offset1:157
	v_pack_b32_f16 v38, v53, v70
	v_pack_b32_f16 v40, v64, v62
	ds_store_2addr_b32 v131, v38, v40 offset0:20 offset1:139
	s_wait_loadcnt 0x1
	v_lshrrev_b32_e32 v77, 16, v55
	s_delay_alu instid0(VALU_DEP_1) | instskip(SKIP_1) | instid1(VALU_DEP_2)
	v_mul_f16_e32 v79, v72, v77
	v_mul_f16_e32 v77, v36, v77
	v_fma_f16 v36, v36, v55, -v79
	s_delay_alu instid0(VALU_DEP_2) | instskip(SKIP_3) | instid1(VALU_DEP_3)
	v_fmac_f16_e32 v77, v72, v55
	v_lshrrev_b32_e32 v55, 16, v68
	s_wait_loadcnt 0x0
	v_lshrrev_b32_e32 v72, 16, v66
	v_pack_b32_f16 v36, v36, v77
	s_delay_alu instid0(VALU_DEP_2) | instskip(SKIP_4) | instid1(VALU_DEP_1)
	v_mul_f16_e32 v79, v55, v72
	v_mul_f16_e32 v72, v68, v72
	ds_store_2addr_b32 v47, v35, v36 offset0:130 offset1:249
	v_fma_f16 v68, v68, v66, -v79
	v_fmac_f16_e32 v72, v55, v66
	v_pack_b32_f16 v35, v68, v72
	ds_store_b32 v49, v35 offset:7616
	global_wb scope:SCOPE_SE
	s_wait_dscnt 0x0
	s_barrier_signal -1
	s_barrier_wait -1
	global_inv scope:SCOPE_SE
	ds_load_2addr_b32 v[35:36], v49 offset1:119
	ds_load_2addr_b32 v[37:38], v37 offset0:110 offset1:229
	ds_load_2addr_b32 v[171:172], v46 offset0:56 offset1:175
	ds_load_b32 v53, v49 offset:7616
	s_wait_dscnt 0x3
	v_pk_add_f16 v40, v36, v35
	s_wait_dscnt 0x1
	v_pk_add_f16 v142, v171, v172 neg_lo:[0,1] neg_hi:[0,1]
	s_wait_dscnt 0x0
	v_pk_add_f16 v57, v53, v36
	v_pk_add_f16 v147, v172, v171
	;; [unrolled: 1-line block ×3, first 2 shown]
	s_delay_alu instid0(VALU_DEP_3) | instskip(NEXT) | instid1(VALU_DEP_2)
	v_lshrrev_b32_e32 v169, 16, v57
	v_pk_add_f16 v43, v40, v38
	ds_load_2addr_b32 v[39:40], v39 offset0:92 offset1:211
	v_mul_f16_e64 v151, 0xbacd, v169
	v_mul_f16_e64 v173, 0x3b76, v169
	s_wait_dscnt 0x0
	v_pk_add_f16 v43, v43, v39
	s_delay_alu instid0(VALU_DEP_1) | instskip(SKIP_3) | instid1(VALU_DEP_1)
	v_pk_add_f16 v48, v43, v40
	ds_load_2addr_b32 v[43:44], v41 offset0:74 offset1:193
	s_wait_dscnt 0x0
	v_pk_add_f16 v41, v48, v43
	v_pk_add_f16 v133, v41, v44
	ds_load_2addr_b32 v[41:42], v42 offset0:38 offset1:157
	v_pk_add_f16 v46, v133, v171
	ds_load_2addr_b32 v[133:134], v131 offset0:20 offset1:139
	v_pk_add_f16 v46, v46, v172
	s_wait_dscnt 0x1
	v_pk_add_f16 v132, v44, v41 neg_lo:[0,1] neg_hi:[0,1]
	v_pk_add_f16 v44, v41, v44
	s_delay_alu instid0(VALU_DEP_3) | instskip(SKIP_3) | instid1(VALU_DEP_4)
	v_pk_add_f16 v41, v46, v41
	v_pk_add_f16 v48, v43, v42 neg_lo:[0,1] neg_hi:[0,1]
	v_pk_add_f16 v43, v42, v43
	v_lshrrev_b32_e32 v157, 16, v132
	v_pk_add_f16 v46, v41, v42
	s_wait_dscnt 0x0
	v_pk_add_f16 v41, v39, v134 neg_lo:[0,1] neg_hi:[0,1]
	v_pk_add_f16 v42, v134, v39
	v_pk_add_f16 v39, v40, v133 neg_lo:[0,1] neg_hi:[0,1]
	v_pk_add_f16 v40, v133, v40
	v_pk_add_f16 v46, v46, v133
	v_lshrrev_b32_e32 v164, 16, v41
	v_lshrrev_b32_e32 v165, 16, v42
	;; [unrolled: 1-line block ×4, first 2 shown]
	v_pk_add_f16 v52, v46, v134
	ds_load_2addr_b32 v[133:134], v47 offset0:130 offset1:249
	v_mul_f16_e64 v140, 0x3a62, v164
	v_mul_f16_e64 v141, 0xb8d2, v165
	;; [unrolled: 1-line block ×4, first 2 shown]
	v_lshrrev_b32_e32 v159, 16, v48
	v_lshrrev_b32_e32 v160, 16, v43
	v_mul_f16_e64 v155, 0x3964, v157
	global_wb scope:SCOPE_SE
	s_wait_dscnt 0x0
	s_barrier_signal -1
	v_mul_f16_e64 v136, 0xb1e1, v159
	v_mul_f16_e64 v137, 0xbbdd, v160
	s_barrier_wait -1
	global_inv scope:SCOPE_SE
	v_pk_add_f16 v46, v37, v134 neg_lo:[0,1] neg_hi:[0,1]
	v_pk_add_f16 v47, v134, v37
	v_pk_add_f16 v37, v38, v133 neg_lo:[0,1] neg_hi:[0,1]
	v_pk_add_f16 v38, v133, v38
	v_pk_add_f16 v52, v52, v133
	v_pk_add_f16 v133, v36, v53 neg_lo:[0,1] neg_hi:[0,1]
	v_lshrrev_b32_e32 v168, 16, v46
	v_lshrrev_b32_e32 v170, 16, v47
	;; [unrolled: 1-line block ×3, first 2 shown]
	v_pk_add_f16 v52, v52, v134
	v_lshrrev_b32_e32 v55, 16, v133
	v_mul_f16_e64 v150, 0x3b29, v168
	v_mul_f16_e64 v152, 0x3722, v170
	;; [unrolled: 1-line block ×3, first 2 shown]
	v_lshrrev_b32_e32 v167, 16, v38
	v_mul_f16_e32 v62, 0xb964, v55
	v_mul_f16_e32 v68, 0xbbf7, v55
	;; [unrolled: 1-line block ×4, first 2 shown]
	v_mul_f16_e64 v146, 0x2de8, v167
	v_fmamk_f16 v64, v57, 0x39e9, v62
	v_fma_f16 v62, v57, 0x39e9, -v62
	v_fmamk_f16 v70, v57, 0x2de8, v68
	v_fma_f16 v68, v57, 0x2de8, -v68
	;; [unrolled: 2-line block ×3, first 2 shown]
	v_add_f16_e64 v134, v62, v35
	v_mul_f16_e32 v62, 0xbb29, v55
	v_add_f16_e64 v148, v68, v35
	v_mul_f16_e32 v68, 0xba62, v55
	;; [unrolled: 2-line block ×3, first 2 shown]
	v_fmamk_f16 v66, v57, 0x3722, v62
	v_fma_f16 v62, v57, 0x3722, -v62
	v_pk_mul_f16 v72, 0xb1e1, v133 op_sel_hi:[0,1]
	v_fmamk_f16 v59, v57, 0x3b76, v36
	v_fma_f16 v36, v57, 0x3b76, -v36
	v_add_f16_e64 v161, v74, v35
	v_add_f16_e64 v135, v62, v35
	v_add_f16_e32 v62, v70, v35
	v_fmamk_f16 v70, v57, 0xb8d2, v68
	v_fma_f16 v68, v57, 0xb8d2, -v68
	v_pk_fma_f16 v74, 0xbbdd, v57, v72 op_sel:[0,0,1] op_sel_hi:[0,1,0]
	v_pk_fma_f16 v72, 0xbbdd, v57, v72 op_sel:[0,0,1] op_sel_hi:[0,1,0] neg_lo:[0,0,1] neg_hi:[0,0,1]
	v_add_f16_e32 v59, v59, v35
	v_add_f16_e64 v158, v70, v35
	v_fmamk_f16 v70, v57, 0xbacd, v55
	v_fma_f16 v55, v57, 0xbacd, -v55
	v_add_f16_e32 v36, v36, v35
	v_add_f16_e32 v64, v64, v35
	;; [unrolled: 1-line block ×3, first 2 shown]
	v_add_f16_e64 v149, v68, v35
	v_add_f16_e32 v68, v70, v35
	v_add_f16_e64 v144, v55, v35
	v_pk_add_f16 v154, v74, v35
	v_pk_add_f16 v153, v72, v35
	v_lshrrev_b32_e32 v35, 16, v35
	v_fma_f16 v55, 0x3722, v47, v150
	v_fma_f16 v57, 0x3836, v133, v151
	v_pk_add_f16 v52, v52, v53
	v_mul_f16_e64 v172, 0x39e9, v170
	v_mul_f16_e64 v171, 0xb964, v168
	v_add_f16_e32 v55, v55, v68
	v_add_f16_e32 v57, v57, v35
	v_fma_f16 v68, 0xbb29, v46, v152
	v_mul_f16_e64 v85, 0xb8d2, v170
	v_mul_f16_e64 v174, 0xbbdd, v170
	v_fmac_f16_e64 v151, 0xb836, v133
	v_fmac_f16_e64 v152, 0x3b29, v46
	v_add_f16_e32 v57, v68, v57
	v_fma_f16 v68, 0x2de8, v38, v145
	v_fmamk_f16 v87, v46, 0x3a62, v85
	v_fma_f16 v175, 0x31e1, v46, v174
	v_fmac_f16_e64 v174, 0xb1e1, v46
	v_fmac_f16_e32 v85, 0xba62, v46
	v_add_f16_e32 v55, v68, v55
	v_fma_f16 v68, 0x3bf7, v37, v146
	v_fmac_f16_e64 v146, 0xbbf7, v37
	s_delay_alu instid0(VALU_DEP_2) | instskip(SKIP_1) | instid1(VALU_DEP_1)
	v_add_f16_e32 v57, v68, v57
	v_fma_f16 v68, 0xb8d2, v42, v140
	v_add_f16_e32 v55, v68, v55
	v_fma_f16 v68, 0xba62, v41, v141
	v_fmac_f16_e64 v141, 0x3a62, v41
	s_delay_alu instid0(VALU_DEP_2) | instskip(SKIP_1) | instid1(VALU_DEP_1)
	v_add_f16_e32 v57, v68, v57
	v_fma_f16 v68, 0x3b76, v40, v138
	;; [unrolled: 6-line block ×4, first 2 shown]
	v_add_f16_e32 v55, v68, v55
	v_lshrrev_b32_e32 v68, 16, v44
	s_delay_alu instid0(VALU_DEP_1) | instskip(NEXT) | instid1(VALU_DEP_1)
	v_mul_f16_e64 v156, 0x39e9, v68
	v_fma_f16 v70, 0xb964, v132, v156
	v_fmac_f16_e64 v156, 0x3964, v132
	s_delay_alu instid0(VALU_DEP_2) | instskip(SKIP_1) | instid1(VALU_DEP_1)
	v_add_f16_e32 v57, v70, v57
	v_lshrrev_b32_e32 v70, 16, v142
	v_mul_f16_e32 v72, 0xbbb2, v70
	s_delay_alu instid0(VALU_DEP_1) | instskip(NEXT) | instid1(VALU_DEP_1)
	v_fma_f16 v74, 0xb461, v147, v72
	v_add_f16_e32 v55, v74, v55
	v_lshrrev_b32_e32 v74, 16, v147
	s_delay_alu instid0(VALU_DEP_1) | instskip(NEXT) | instid1(VALU_DEP_1)
	v_mul_f16_e32 v77, 0xb461, v74
	v_fma_f16 v79, 0x3bb2, v142, v77
	v_fmac_f16_e64 v77, 0xbbb2, v142
	s_delay_alu instid0(VALU_DEP_2) | instskip(SKIP_1) | instid1(VALU_DEP_2)
	v_add_f16_e32 v57, v79, v57
	v_mul_f16_e64 v79, 0x2de8, v170
	v_pack_b32_f16 v53, v55, v57
	v_fma_f16 v55, 0x3964, v46, v172
	s_delay_alu instid0(VALU_DEP_3)
	v_fmamk_f16 v82, v46, 0x3bf7, v79
	v_fmac_f16_e32 v79, 0xbbf7, v46
	v_fmac_f16_e64 v172, 0xb964, v46
	ds_store_2addr_b32 v45, v52, v53 offset1:7
	v_fma_f16 v53, 0x35c8, v133, v173
	v_fma_f16 v52, 0x39e9, v47, v171
	v_fmac_f16_e64 v173, 0xb5c8, v133
	s_delay_alu instid0(VALU_DEP_3) | instskip(NEXT) | instid1(VALU_DEP_3)
	v_add_f16_e32 v53, v53, v35
	v_add_f16_e32 v52, v52, v59
	v_mul_f16_e64 v59, 0x39e9, v169
	s_delay_alu instid0(VALU_DEP_3) | instskip(SKIP_1) | instid1(VALU_DEP_1)
	v_add_f16_e32 v53, v55, v53
	v_mul_f16_e64 v55, 0xbbf7, v168
	v_fmamk_f16 v57, v47, 0x2de8, v55
	v_fma_f16 v55, v47, 0x2de8, -v55
	s_delay_alu instid0(VALU_DEP_2) | instskip(SKIP_2) | instid1(VALU_DEP_4)
	v_add_f16_e32 v57, v57, v64
	v_fma_f16 v64, 0x3964, v133, v59
	v_fmac_f16_e64 v59, 0xb964, v133
	v_add_f16_e64 v55, v55, v134
	s_delay_alu instid0(VALU_DEP_3) | instskip(NEXT) | instid1(VALU_DEP_1)
	v_add_f16_e32 v64, v64, v35
	v_add_f16_e32 v64, v82, v64
	v_mul_f16_e64 v82, 0xba62, v168
	s_delay_alu instid0(VALU_DEP_1) | instskip(NEXT) | instid1(VALU_DEP_1)
	v_fmamk_f16 v83, v47, 0xb8d2, v82
	v_add_f16_e32 v66, v83, v66
	v_mul_f16_e64 v83, 0x3722, v169
	s_delay_alu instid0(VALU_DEP_1) | instskip(SKIP_1) | instid1(VALU_DEP_2)
	v_fma_f16 v84, 0x3b29, v133, v83
	v_fmac_f16_e64 v83, 0xbb29, v133
	v_add_f16_e32 v84, v84, v35
	s_delay_alu instid0(VALU_DEP_1) | instskip(SKIP_1) | instid1(VALU_DEP_1)
	v_add_f16_e32 v84, v87, v84
	v_mul_f16_e64 v87, 0xb1e1, v168
	v_fmamk_f16 v88, v47, 0xbbdd, v87
	s_delay_alu instid0(VALU_DEP_1) | instskip(SKIP_1) | instid1(VALU_DEP_1)
	v_add_f16_e32 v62, v88, v62
	v_mul_f16_e64 v88, 0x2de8, v169
	v_fma_f16 v89, 0x3bf7, v133, v88
	v_fmac_f16_e64 v88, 0xbbf7, v133
	s_delay_alu instid0(VALU_DEP_2) | instskip(NEXT) | instid1(VALU_DEP_1)
	v_add_f16_e32 v89, v89, v35
	v_add_f16_e64 v89, v175, v89
	v_mul_f16_e64 v175, 0xbb29, v166
	s_delay_alu instid0(VALU_DEP_1) | instskip(NEXT) | instid1(VALU_DEP_1)
	v_fma_f16 v176, 0x3722, v38, v175
	v_add_f16_e64 v52, v176, v52
	v_mul_f16_e64 v176, 0x3722, v167
	s_delay_alu instid0(VALU_DEP_1) | instskip(SKIP_1) | instid1(VALU_DEP_2)
	v_fma_f16 v177, 0x3b29, v37, v176
	v_fmac_f16_e64 v176, 0xbb29, v37
	v_add_f16_e64 v53, v177, v53
	v_mul_f16_e64 v177, 0xba62, v166
	s_delay_alu instid0(VALU_DEP_1) | instskip(NEXT) | instid1(VALU_DEP_1)
	v_fma_f16 v178, 0xb8d2, v38, v177
	v_add_f16_e64 v57, v178, v57
	v_mul_f16_e64 v178, 0xb8d2, v167
	s_delay_alu instid0(VALU_DEP_1) | instskip(SKIP_1) | instid1(VALU_DEP_2)
	v_fma_f16 v179, 0x3a62, v37, v178
	v_fmac_f16_e64 v178, 0xba62, v37
	;; [unrolled: 9-line block ×21, first 2 shown]
	v_add_f16_e64 v53, v217, v53
	v_mul_f16_e64 v217, 0x35c8, v70
	s_delay_alu instid0(VALU_DEP_2) | instskip(NEXT) | instid1(VALU_DEP_2)
	v_pack_b32_f16 v52, v52, v53
	v_fma_f16 v218, 0x3b76, v147, v217
	s_delay_alu instid0(VALU_DEP_1) | instskip(SKIP_1) | instid1(VALU_DEP_1)
	v_add_f16_e64 v57, v218, v57
	v_mul_f16_e64 v218, 0x3b76, v74
	v_fma_f16 v219, 0xb5c8, v142, v218
	v_fmac_f16_e64 v218, 0x35c8, v142
	s_delay_alu instid0(VALU_DEP_2) | instskip(SKIP_1) | instid1(VALU_DEP_2)
	v_add_f16_e64 v64, v219, v64
	v_mul_f16_e64 v219, 0xb836, v70
	v_pack_b32_f16 v57, v57, v64
	s_delay_alu instid0(VALU_DEP_2) | instskip(SKIP_1) | instid1(VALU_DEP_2)
	v_fma_f16 v220, 0xbacd, v147, v219
	v_mul_f16_e64 v64, 0xb461, v169
	v_add_f16_e64 v66, v220, v66
	v_mul_f16_e64 v220, 0xbacd, v74
	s_delay_alu instid0(VALU_DEP_1) | instskip(SKIP_1) | instid1(VALU_DEP_2)
	v_fma_f16 v221, 0x3836, v142, v220
	v_fmac_f16_e64 v220, 0xb836, v142
	v_add_f16_e64 v84, v221, v84
	v_mul_f16_e64 v221, 0x3964, v70
	s_delay_alu instid0(VALU_DEP_1) | instskip(NEXT) | instid1(VALU_DEP_1)
	v_fma_f16 v222, 0x39e9, v147, v221
	v_add_f16_e64 v62, v222, v62
	v_mul_f16_e64 v222, 0x39e9, v74
	s_delay_alu instid0(VALU_DEP_1) | instskip(SKIP_1) | instid1(VALU_DEP_2)
	v_fma_f16 v223, 0xb964, v142, v222
	v_fmac_f16_e64 v222, 0x3964, v142
	v_add_f16_e64 v89, v223, v89
	s_delay_alu instid0(VALU_DEP_1)
	v_pack_b32_f16 v53, v62, v89
	v_pack_b32_f16 v62, v66, v84
	v_fma_f16 v66, 0x3bb2, v133, v64
	v_mul_f16_e64 v84, 0xbacd, v170
	ds_store_2addr_b32 v45, v52, v57 offset0:1 offset1:2
	v_mul_f16_e64 v52, 0x3836, v168
	ds_store_2addr_b32 v45, v62, v53 offset0:3 offset1:4
	v_add_f16_e32 v66, v66, v35
	v_fmamk_f16 v89, v46, 0xb836, v84
	v_pk_mul_f16 v53, 0x35c8, v46 op_sel_hi:[0,1]
	v_fmamk_f16 v57, v47, 0xbacd, v52
	v_fma_f16 v52, v47, 0xbacd, -v52
	v_fmac_f16_e64 v64, 0xbbb2, v133
	v_add_f16_e32 v66, v89, v66
	v_mul_f16_e64 v89, 0x3bb2, v168
	v_add_f16_e64 v57, v57, v161
	v_mul_f16_e64 v168, 0xb461, v170
	v_pk_fma_f16 v62, 0x3b76, v47, v53 op_sel:[0,0,1] op_sel_hi:[0,1,0]
	v_pk_fma_f16 v53, 0x3b76, v47, v53 op_sel:[0,0,1] op_sel_hi:[0,1,0] neg_lo:[0,0,1] neg_hi:[0,0,1]
	v_fma_f16 v161, 0xb461, v47, v89
	v_add_f16_e64 v52, v52, v143
	v_fma_f16 v170, 0xbbb2, v46, v168
	v_pk_add_f16 v62, v62, v154
	v_pk_add_f16 v53, v53, v153
	v_add_f16_e64 v158, v161, v158
	v_mul_f16_e64 v161, 0xb8d2, v169
	v_fmac_f16_e32 v84, 0x3836, v46
	v_fmac_f16_e64 v168, 0x3bb2, v46
	s_delay_alu instid0(VALU_DEP_3) | instskip(SKIP_1) | instid1(VALU_DEP_2)
	v_fma_f16 v169, 0x3a62, v133, v161
	v_fmac_f16_e64 v161, 0xba62, v133
	v_add_f16_e64 v169, v169, v35
	s_delay_alu instid0(VALU_DEP_1) | instskip(SKIP_2) | instid1(VALU_DEP_2)
	v_add_f16_e64 v169, v170, v169
	v_mul_f16_e64 v170, 0x3964, v166
	v_mul_f16_e64 v166, 0xb5c8, v166
	v_fma_f16 v223, 0x39e9, v38, v170
	s_delay_alu instid0(VALU_DEP_1) | instskip(SKIP_2) | instid1(VALU_DEP_2)
	v_add_f16_e64 v57, v223, v57
	v_mul_f16_e64 v223, 0x39e9, v167
	v_mul_f16_e64 v167, 0x3b76, v167
	v_fma_f16 v224, 0xb964, v37, v223
	v_fmac_f16_e64 v223, 0x3964, v37
	s_delay_alu instid0(VALU_DEP_2) | instskip(SKIP_1) | instid1(VALU_DEP_1)
	v_add_f16_e64 v66, v224, v66
	v_fma_f16 v224, 0x3b76, v38, v166
	v_add_f16_e64 v158, v224, v158
	v_fma_f16 v224, 0x35c8, v37, v167
	v_fmac_f16_e64 v167, 0xb5c8, v37
	s_delay_alu instid0(VALU_DEP_2) | instskip(SKIP_2) | instid1(VALU_DEP_2)
	v_add_f16_e64 v169, v224, v169
	v_mul_f16_e64 v224, 0xbb29, v164
	v_mul_f16_e64 v164, 0xb836, v164
	v_fma_f16 v225, 0x3722, v42, v224
	s_delay_alu instid0(VALU_DEP_1) | instskip(SKIP_2) | instid1(VALU_DEP_2)
	v_add_f16_e64 v57, v225, v57
	v_mul_f16_e64 v225, 0x3722, v165
	v_mul_f16_e64 v165, 0xbacd, v165
	v_fma_f16 v226, 0x3b29, v41, v225
	v_fmac_f16_e64 v225, 0xbb29, v41
	s_delay_alu instid0(VALU_DEP_2) | instskip(SKIP_1) | instid1(VALU_DEP_1)
	v_add_f16_e64 v66, v226, v66
	v_fma_f16 v226, 0xbacd, v42, v164
	v_add_f16_e64 v158, v226, v158
	v_fma_f16 v226, 0x3836, v41, v165
	v_fmac_f16_e64 v165, 0xb836, v41
	s_delay_alu instid0(VALU_DEP_2) | instskip(SKIP_2) | instid1(VALU_DEP_2)
	;; [unrolled: 17-line block ×4, first 2 shown]
	v_add_f16_e64 v169, v230, v169
	v_mul_f16_e64 v230, 0xb5c8, v157
	v_mul_f16_e64 v157, 0xb1e1, v157
	v_fma_f16 v231, 0x3b76, v44, v230
	s_delay_alu instid0(VALU_DEP_1) | instskip(SKIP_2) | instid1(VALU_DEP_2)
	v_add_f16_e64 v57, v231, v57
	v_mul_f16_e64 v231, 0x3b76, v68
	v_mul_f16_e32 v68, 0xbbdd, v68
	v_fma_f16 v232, 0x35c8, v132, v231
	v_fmac_f16_e64 v231, 0xb5c8, v132
	s_delay_alu instid0(VALU_DEP_2) | instskip(SKIP_1) | instid1(VALU_DEP_1)
	v_add_f16_e64 v66, v232, v66
	v_fma_f16 v232, 0xbbdd, v44, v157
	v_add_f16_e64 v158, v232, v158
	v_fma_f16 v232, 0x31e1, v132, v68
	v_fmac_f16_e64 v68, 0xb1e1, v132
	s_delay_alu instid0(VALU_DEP_2) | instskip(SKIP_2) | instid1(VALU_DEP_2)
	v_add_f16_e64 v169, v232, v169
	v_mul_f16_e64 v232, 0xba62, v70
	v_mul_f16_e32 v70, 0x3b29, v70
	v_fma_f16 v233, 0xb8d2, v147, v232
	s_delay_alu instid0(VALU_DEP_1) | instskip(NEXT) | instid1(VALU_DEP_3)
	v_add_f16_e64 v57, v233, v57
	v_fma_f16 v233, 0x3722, v147, v70
	v_fma_f16 v70, v147, 0x3722, -v70
	s_delay_alu instid0(VALU_DEP_2) | instskip(SKIP_2) | instid1(VALU_DEP_2)
	v_add_f16_e64 v158, v233, v158
	v_mul_f16_e64 v233, 0x3722, v74
	v_mul_f16_e32 v74, 0xb8d2, v74
	v_fma_f16 v234, 0xbb29, v142, v233
	v_fmac_f16_e64 v233, 0x3b29, v142
	s_delay_alu instid0(VALU_DEP_2) | instskip(NEXT) | instid1(VALU_DEP_4)
	v_add_f16_e64 v169, v234, v169
	v_fma_f16 v234, 0x3a62, v142, v74
	v_fmac_f16_e64 v74, 0xba62, v142
	s_delay_alu instid0(VALU_DEP_3) | instskip(NEXT) | instid1(VALU_DEP_3)
	v_pack_b32_f16 v158, v158, v169
	v_add_f16_e64 v66, v234, v66
	s_delay_alu instid0(VALU_DEP_1) | instskip(SKIP_2) | instid1(VALU_DEP_2)
	v_pack_b32_f16 v57, v57, v66
	v_pk_mul_f16 v66, 0xb836, v37 op_sel_hi:[0,1]
	v_fma_f16 v37, v42, 0x2de8, -v183
	v_pk_fma_f16 v153, 0xbacd, v38, v66 op_sel:[0,0,1] op_sel_hi:[0,1,0]
	v_pk_fma_f16 v66, 0xbacd, v38, v66 op_sel:[0,0,1] op_sel_hi:[0,1,0] neg_lo:[0,0,1] neg_hi:[0,0,1]
	s_delay_alu instid0(VALU_DEP_2) | instskip(NEXT) | instid1(VALU_DEP_2)
	v_pk_add_f16 v62, v153, v62
	v_pk_add_f16 v53, v66, v53
	v_pk_mul_f16 v66, 0x3964, v41 op_sel_hi:[0,1]
	s_delay_alu instid0(VALU_DEP_1) | instskip(SKIP_1) | instid1(VALU_DEP_2)
	v_pk_fma_f16 v153, 0x39e9, v42, v66 op_sel:[0,0,1] op_sel_hi:[0,1,0]
	v_pk_fma_f16 v66, 0x39e9, v42, v66 op_sel:[0,0,1] op_sel_hi:[0,1,0] neg_lo:[0,0,1] neg_hi:[0,0,1]
	v_pk_add_f16 v62, v153, v62
	s_delay_alu instid0(VALU_DEP_2) | instskip(SKIP_1) | instid1(VALU_DEP_1)
	v_pk_add_f16 v53, v66, v53
	v_pk_mul_f16 v66, 0xba62, v39 op_sel_hi:[0,1]
	v_pk_fma_f16 v153, 0xb8d2, v40, v66 op_sel:[0,0,1] op_sel_hi:[0,1,0]
	v_pk_fma_f16 v66, 0xb8d2, v40, v66 op_sel:[0,0,1] op_sel_hi:[0,1,0] neg_lo:[0,0,1] neg_hi:[0,0,1]
	s_delay_alu instid0(VALU_DEP_2) | instskip(NEXT) | instid1(VALU_DEP_2)
	v_pk_add_f16 v62, v153, v62
	v_pk_add_f16 v53, v66, v53
	v_pk_mul_f16 v66, 0x3b29, v48 op_sel_hi:[0,1]
	s_delay_alu instid0(VALU_DEP_1) | instskip(SKIP_1) | instid1(VALU_DEP_2)
	v_pk_fma_f16 v153, 0x3722, v43, v66 op_sel:[0,0,1] op_sel_hi:[0,1,0]
	v_pk_fma_f16 v66, 0x3722, v43, v66 op_sel:[0,0,1] op_sel_hi:[0,1,0] neg_lo:[0,0,1] neg_hi:[0,0,1]
	v_pk_add_f16 v62, v153, v62
	s_delay_alu instid0(VALU_DEP_2) | instskip(SKIP_1) | instid1(VALU_DEP_1)
	v_pk_add_f16 v53, v66, v53
	v_pk_mul_f16 v66, 0xbbb2, v132 op_sel_hi:[0,1]
	v_pk_fma_f16 v153, 0xb461, v44, v66 op_sel:[0,0,1] op_sel_hi:[0,1,0]
	v_pk_fma_f16 v66, 0xb461, v44, v66 op_sel:[0,0,1] op_sel_hi:[0,1,0] neg_lo:[0,0,1] neg_hi:[0,0,1]
	s_delay_alu instid0(VALU_DEP_2) | instskip(NEXT) | instid1(VALU_DEP_2)
	v_pk_add_f16 v62, v153, v62
	v_pk_add_f16 v53, v66, v53
	v_pk_mul_f16 v66, 0x3bf7, v142 op_sel_hi:[0,1]
	s_delay_alu instid0(VALU_DEP_1) | instskip(SKIP_1) | instid1(VALU_DEP_2)
	v_pk_fma_f16 v153, 0x2de8, v147, v66 op_sel:[0,0,1] op_sel_hi:[0,1,0]
	v_pk_fma_f16 v66, 0x2de8, v147, v66 op_sel:[0,0,1] op_sel_hi:[0,1,0] neg_lo:[0,0,1] neg_hi:[0,0,1]
	v_pk_add_f16 v62, v153, v62
	s_delay_alu instid0(VALU_DEP_2) | instskip(NEXT) | instid1(VALU_DEP_1)
	v_pk_add_f16 v53, v66, v53
	v_bfi_b32 v66, 0xffff, v53, v62
	v_bfi_b32 v53, 0xffff, v62, v53
	ds_store_2addr_b32 v45, v57, v158 offset0:5 offset1:6
	ds_store_2addr_b32 v45, v53, v66 offset0:8 offset1:9
	v_fma_f16 v53, v47, 0xbbdd, -v87
	v_add_f16_e32 v57, v88, v35
	v_fma_f16 v88, v38, 0xb461, -v181
	v_add_f16_e32 v62, v64, v35
	v_fma_f16 v64, v47, 0xb461, -v89
	v_add_f16_e64 v53, v53, v148
	v_add_f16_e64 v66, v161, v35
	;; [unrolled: 1-line block ×3, first 2 shown]
	v_add_f16_e32 v62, v84, v62
	v_add_f16_e64 v64, v64, v149
	v_add_f16_e32 v53, v88, v53
	v_fma_f16 v88, v38, 0x39e9, -v170
	v_fma_f16 v84, v47, 0x3722, -v150
	v_add_f16_e64 v66, v168, v66
	v_add_f16_e64 v87, v152, v87
	v_add_f16_e64 v57, v174, v57
	v_add_f16_e32 v52, v88, v52
	v_fma_f16 v88, v38, 0x3b76, -v166
	v_add_f16_e64 v84, v84, v144
	v_add_f16_e64 v66, v167, v66
	v_add_f16_e64 v87, v146, v87
	v_add_f16_e64 v57, v182, v57
	v_add_f16_e32 v64, v88, v64
	v_fma_f16 v88, v38, 0x2de8, -v145
	v_add_f16_e64 v66, v165, v66
	;; [unrolled: 6-line block ×4, first 2 shown]
	v_add_f16_e64 v62, v227, v62
	v_add_f16_e64 v87, v137, v87
	;; [unrolled: 1-line block ×3, first 2 shown]
	v_add_f16_e32 v52, v88, v52
	v_fma_f16 v88, v42, 0xbacd, -v164
	v_add_f16_e32 v66, v68, v66
	v_fma_f16 v68, v44, 0x39e9, -v155
	v_add_f16_e64 v62, v229, v62
	v_add_f16_e64 v57, v214, v57
	v_add_f16_e32 v64, v88, v64
	v_fma_f16 v88, v42, 0xb8d2, -v140
	v_add_f16_e64 v66, v233, v66
	v_add_f16_e64 v62, v231, v62
	;; [unrolled: 1-line block ×3, first 2 shown]
	s_delay_alu instid0(VALU_DEP_4) | instskip(SKIP_1) | instid1(VALU_DEP_4)
	v_add_f16_e32 v84, v88, v84
	v_fma_f16 v88, v40, 0x3722, -v197
	v_add_f16_e32 v62, v74, v62
	s_delay_alu instid0(VALU_DEP_2) | instskip(SKIP_1) | instid1(VALU_DEP_1)
	v_add_f16_e32 v53, v88, v53
	v_fma_f16 v88, v40, 0xbbdd, -v226
	v_add_f16_e32 v52, v88, v52
	v_fma_f16 v88, v40, 0x2de8, -v162
	s_delay_alu instid0(VALU_DEP_1) | instskip(SKIP_1) | instid1(VALU_DEP_1)
	v_add_f16_e32 v64, v88, v64
	v_fma_f16 v88, v40, 0x3b76, -v138
	v_add_f16_e32 v84, v88, v84
	v_fma_f16 v88, v43, 0xbacd, -v205
	s_delay_alu instid0(VALU_DEP_1) | instskip(SKIP_1) | instid1(VALU_DEP_1)
	;; [unrolled: 5-line block ×3, first 2 shown]
	v_add_f16_e32 v64, v88, v64
	v_fma_f16 v88, v43, 0xbbdd, -v136
	v_add_f16_e32 v84, v88, v84
	v_fma_f16 v88, v44, 0xb8d2, -v213
	s_delay_alu instid0(VALU_DEP_2) | instskip(NEXT) | instid1(VALU_DEP_2)
	v_add_f16_e32 v68, v68, v84
	v_add_f16_e32 v53, v88, v53
	v_fma_f16 v88, v44, 0x3b76, -v230
	v_add_f16_e64 v84, v156, v87
	v_fma_f16 v87, v147, 0x39e9, -v221
	s_delay_alu instid0(VALU_DEP_3) | instskip(SKIP_1) | instid1(VALU_DEP_3)
	v_add_f16_e32 v52, v88, v52
	v_fma_f16 v88, v44, 0xbbdd, -v157
	v_add_f16_e32 v53, v87, v53
	v_fma_f16 v87, v147, 0xb8d2, -v232
	s_delay_alu instid0(VALU_DEP_3) | instskip(NEXT) | instid1(VALU_DEP_3)
	v_add_f16_e32 v64, v88, v64
	v_pack_b32_f16 v53, v53, v57
	s_delay_alu instid0(VALU_DEP_3)
	v_add_f16_e32 v52, v87, v52
	v_add_f16_e32 v57, v59, v35
	v_fma_f16 v59, v47, 0xb8d2, -v82
	v_add_f16_e32 v64, v70, v64
	v_fma_f16 v70, v147, 0xb461, -v72
	v_pack_b32_f16 v52, v52, v62
	v_add_f16_e32 v62, v83, v35
	v_add_f16_e64 v59, v59, v135
	v_pack_b32_f16 v64, v64, v66
	v_add_f16_e32 v68, v70, v68
	v_add_f16_e32 v70, v77, v84
	v_add_f16_e64 v35, v173, v35
	v_fma_f16 v47, v47, 0x39e9, -v171
	v_add_f16_e32 v57, v79, v57
	v_add_f16_e32 v62, v85, v62
	v_pack_b32_f16 v66, v68, v70
	v_add_f16_e64 v35, v172, v35
	v_add_f16_e32 v36, v47, v36
	v_add_f16_e64 v57, v178, v57
	v_add_f16_e64 v62, v180, v62
	ds_store_2addr_b32 v45, v66, v64 offset0:10 offset1:11
	ds_store_2addr_b32 v45, v52, v53 offset0:12 offset1:13
	v_fma_f16 v64, v38, 0xb8d2, -v177
	v_add_f16_e64 v35, v176, v35
	v_add_f16_e64 v57, v186, v57
	;; [unrolled: 1-line block ×3, first 2 shown]
	s_delay_alu instid0(VALU_DEP_4)
	v_add_f16_e32 v55, v64, v55
	v_fma_f16 v64, v38, 0xbbdd, -v179
	v_fma_f16 v38, v38, 0x3722, -v175
	v_add_f16_e64 v35, v184, v35
	v_add_f16_e64 v57, v194, v57
	;; [unrolled: 1-line block ×3, first 2 shown]
	v_add_f16_e32 v59, v64, v59
	v_fma_f16 v64, v42, 0xbbdd, -v185
	v_add_f16_e32 v36, v38, v36
	v_add_f16_e64 v35, v192, v35
	v_add_f16_e64 v57, v202, v57
	v_add_f16_e64 v62, v204, v62
	v_add_f16_e32 v55, v64, v55
	v_fma_f16 v64, v42, 0xb461, -v187
	v_add_f16_e32 v36, v37, v36
	v_fma_f16 v37, v40, 0xb461, -v191
	v_add_f16_e64 v35, v200, v35
	v_add_f16_e64 v57, v210, v57
	v_add_f16_e32 v59, v64, v59
	v_fma_f16 v64, v40, 0xbacd, -v193
	v_add_f16_e32 v36, v37, v36
	v_fma_f16 v37, v43, 0xb8d2, -v199
	v_add_f16_e64 v62, v212, v62
	v_add_f16_e64 v35, v208, v35
	;; [unrolled: 6-line block ×3, first 2 shown]
	v_add_f16_e32 v59, v64, v59
	v_fma_f16 v64, v43, 0xb461, -v201
	v_add_f16_e32 v36, v37, v36
	v_fma_f16 v37, v147, 0xbbdd, -v215
	v_add_f16_e64 v133, v216, v35
	v_add_nc_u32_e32 v38, 0x1000, v49
	v_add_f16_e32 v55, v64, v55
	v_fma_f16 v64, v43, 0x3b76, -v203
	v_add_f16_e64 v132, v37, v36
	v_add_nc_u32_e32 v36, 0x800, v49
	v_add_nc_u32_e32 v37, 0xc00, v49
	s_delay_alu instid0(VALU_DEP_4) | instskip(SKIP_2) | instid1(VALU_DEP_2)
	v_add_f16_e32 v59, v64, v59
	v_fma_f16 v64, v44, 0x3722, -v209
	v_pack_b32_f16 v35, v132, v133
	v_add_f16_e32 v55, v64, v55
	v_fma_f16 v64, v44, 0x2de8, -v211
	s_delay_alu instid0(VALU_DEP_1) | instskip(SKIP_1) | instid1(VALU_DEP_1)
	v_add_f16_e32 v59, v64, v59
	v_fma_f16 v64, v147, 0x3b76, -v217
	v_add_f16_e64 v136, v64, v55
	v_fma_f16 v55, v147, 0xbacd, -v219
	s_delay_alu instid0(VALU_DEP_1) | instskip(NEXT) | instid1(VALU_DEP_3)
	v_add_f16_e64 v134, v55, v59
	v_pack_b32_f16 v55, v136, v137
	s_delay_alu instid0(VALU_DEP_2)
	v_pack_b32_f16 v57, v134, v135
	ds_store_2addr_b32 v45, v57, v55 offset0:14 offset1:15
	ds_store_b32 v45, v35 offset:64
	v_add_nc_u32_e32 v35, 0x400, v49
	global_wb scope:SCOPE_SE
	s_wait_dscnt 0x0
	s_barrier_signal -1
	s_barrier_wait -1
	global_inv scope:SCOPE_SE
	ds_load_2addr_b32 v[47:48], v35 offset0:33 offset1:152
	v_add_nc_u32_e32 v35, 0x1a00, v49
	ds_load_2addr_b32 v[45:46], v36 offset0:66 offset1:185
	ds_load_2addr_b32 v[43:44], v37 offset0:99 offset1:218
	;; [unrolled: 1-line block ×5, first 2 shown]
	ds_load_2addr_b32 v[35:36], v49 offset1:119
	s_and_saveexec_b32 s0, vcc_lo
	s_cbranch_execz .LBB0_7
; %bb.6:
	ds_load_b32 v134, v49 offset:952
	ds_load_b32 v136, v49 offset:2108
	;; [unrolled: 1-line block ×7, first 2 shown]
	s_wait_dscnt 0x6
	v_lshrrev_b32_e32 v135, 16, v134
	s_wait_dscnt 0x5
	v_lshrrev_b32_e32 v137, 16, v136
	;; [unrolled: 2-line block ×7, first 2 shown]
.LBB0_7:
	s_wait_alu 0xfffe
	s_or_b32 exec_lo, exec_lo, s0
	s_wait_dscnt 0x6
	v_lshrrev_b32_e32 v52, 16, v47
	s_wait_dscnt 0x5
	v_lshrrev_b32_e32 v53, 16, v45
	;; [unrolled: 2-line block ×5, first 2 shown]
	v_mul_f16_e32 v77, v112, v52
	v_mul_f16_e32 v79, v112, v47
	v_mul_f16_e32 v82, v111, v53
	v_mul_f16_e32 v83, v111, v45
	s_wait_dscnt 0x1
	v_lshrrev_b32_e32 v62, 16, v37
	v_lshrrev_b32_e32 v66, 16, v48
	v_fmac_f16_e32 v77, v8, v47
	v_fma_f16 v8, v8, v52, -v79
	v_fmac_f16_e32 v82, v9, v45
	v_fma_f16 v9, v9, v53, -v83
	v_mul_f16_e32 v45, v109, v55
	v_mul_f16_e32 v47, v109, v43
	v_mul_f16_e32 v52, v106, v57
	v_mul_f16_e32 v53, v106, v41
	v_mul_f16_e32 v79, v102, v59
	v_lshrrev_b32_e32 v68, 16, v46
	v_lshrrev_b32_e32 v72, 16, v42
	v_fmac_f16_e32 v45, v10, v43
	v_fma_f16 v10, v10, v55, -v47
	v_fmac_f16_e32 v52, v11, v41
	v_fma_f16 v11, v11, v57, -v53
	v_fmac_f16_e32 v79, v33, v39
	v_mul_f16_e32 v39, v102, v39
	v_mul_f16_e32 v41, v100, v62
	;; [unrolled: 1-line block ×4, first 2 shown]
	v_lshrrev_b32_e32 v70, 16, v44
	v_lshrrev_b32_e32 v74, 16, v40
	;; [unrolled: 1-line block ×3, first 2 shown]
	v_mul_f16_e32 v43, v100, v37
	v_fma_f16 v33, v33, v59, -v39
	v_fmac_f16_e32 v41, v34, v37
	v_fmac_f16_e32 v47, v4, v48
	v_fma_f16 v4, v4, v66, -v53
	v_mul_f16_e32 v37, v101, v68
	v_mul_f16_e32 v39, v101, v46
	;; [unrolled: 1-line block ×3, first 2 shown]
	v_fma_f16 v34, v34, v62, -v43
	v_mul_f16_e32 v43, v98, v70
	v_mul_f16_e32 v48, v98, v44
	v_fmac_f16_e32 v37, v5, v46
	v_fma_f16 v5, v5, v68, -v39
	v_fmac_f16_e32 v53, v7, v42
	v_mul_f16_e32 v39, v97, v42
	v_mul_f16_e32 v42, v96, v74
	;; [unrolled: 1-line block ×3, first 2 shown]
	v_fmac_f16_e32 v43, v6, v44
	v_fma_f16 v6, v6, v70, -v48
	v_mul_f16_e32 v44, v96, v40
	v_mul_f16_e32 v48, v95, v38
	v_fma_f16 v7, v7, v72, -v39
	v_fmac_f16_e32 v42, v31, v40
	v_fmac_f16_e32 v46, v32, v38
	v_add_f16_e32 v38, v77, v41
	v_add_f16_e32 v39, v8, v34
	v_sub_f16_e32 v40, v77, v41
	v_sub_f16_e32 v8, v8, v34
	v_add_f16_e32 v34, v82, v79
	v_add_f16_e32 v41, v9, v33
	v_fma_f16 v32, v32, v84, -v48
	v_sub_f16_e32 v9, v9, v33
	v_add_f16_e32 v33, v45, v52
	v_add_f16_e32 v48, v10, v11
	v_sub_f16_e32 v45, v52, v45
	v_sub_f16_e32 v10, v11, v10
	v_add_f16_e32 v11, v34, v38
	v_add_f16_e32 v52, v41, v39
	v_sub_f16_e32 v57, v41, v39
	v_sub_f16_e32 v39, v39, v48
	;; [unrolled: 1-line block ×3, first 2 shown]
	v_add_f16_e32 v11, v33, v11
	v_add_f16_e32 v48, v48, v52
	s_wait_dscnt 0x0
	v_lshrrev_b32_e32 v52, 16, v35
	v_fma_f16 v31, v31, v74, -v44
	v_sub_f16_e32 v44, v82, v79
	v_add_f16_e32 v35, v11, v35
	v_sub_f16_e32 v55, v34, v38
	v_add_f16_e32 v52, v48, v52
	v_sub_f16_e32 v38, v38, v33
	v_sub_f16_e32 v34, v33, v34
	v_add_f16_e32 v33, v45, v44
	v_add_f16_e32 v59, v10, v9
	v_sub_f16_e32 v62, v45, v44
	v_sub_f16_e32 v66, v10, v9
	v_lshlrev_b32_e32 v68, 16, v52
	v_and_b32_e32 v70, 0xffff, v35
	v_sub_f16_e32 v44, v44, v40
	v_sub_f16_e32 v9, v9, v8
	;; [unrolled: 1-line block ×4, first 2 shown]
	v_add_f16_e32 v33, v33, v40
	v_add_f16_e32 v8, v59, v8
	v_or_b32_e32 v40, v68, v70
	v_mul_f16_e32 v38, 0x3a52, v38
	v_mul_f16_e32 v39, 0x3a52, v39
	v_mul_f16_e32 v59, 0x2b26, v34
	v_mul_f16_e32 v68, 0x2b26, v41
	v_mul_f16_e32 v62, 0x3846, v62
	v_mul_f16_e32 v66, 0x3846, v66
	v_mul_f16_e32 v70, 0xbb00, v44
	v_mul_f16_e32 v72, 0xbb00, v9
	v_fmac_f16_e32 v35, 0xbcab, v11
	v_fmac_f16_e32 v52, 0xbcab, v48
	v_fmamk_f16 v11, v34, 0x2b26, v38
	v_fmamk_f16 v34, v41, 0x2b26, v39
	v_fma_f16 v41, v55, 0x39e0, -v59
	v_fma_f16 v48, v57, 0x39e0, -v68
	;; [unrolled: 1-line block ×4, first 2 shown]
	v_fmamk_f16 v55, v45, 0xb574, v62
	v_fmamk_f16 v57, v10, 0xb574, v66
	v_fma_f16 v44, v44, 0xbb00, -v62
	v_fma_f16 v9, v9, 0xbb00, -v66
	;; [unrolled: 1-line block ×4, first 2 shown]
	v_add_f16_e32 v11, v11, v35
	v_add_f16_e32 v41, v41, v35
	;; [unrolled: 1-line block ×5, first 2 shown]
	v_fmac_f16_e32 v44, 0xb70e, v33
	v_fmac_f16_e32 v10, 0xb70e, v8
	;; [unrolled: 1-line block ×4, first 2 shown]
	v_add_f16_e32 v34, v34, v52
	v_add_f16_e32 v62, v44, v48
	;; [unrolled: 1-line block ×3, first 2 shown]
	v_sub_f16_e32 v52, v38, v45
	v_sub_f16_e32 v59, v41, v9
	v_add_f16_e32 v9, v9, v41
	v_sub_f16_e32 v41, v48, v44
	v_sub_f16_e32 v10, v35, v10
	v_add_f16_e32 v35, v45, v38
	v_add_f16_e32 v38, v47, v46
	;; [unrolled: 1-line block ×3, first 2 shown]
	v_sub_f16_e32 v45, v47, v46
	v_sub_f16_e32 v4, v4, v32
	v_add_f16_e32 v32, v37, v42
	v_add_f16_e32 v46, v5, v31
	v_fmac_f16_e32 v55, 0xb70e, v33
	v_fmac_f16_e32 v57, 0xb70e, v8
	v_sub_f16_e32 v37, v37, v42
	v_sub_f16_e32 v5, v5, v31
	v_add_f16_e32 v31, v43, v53
	v_add_f16_e32 v42, v6, v7
	v_sub_f16_e32 v43, v53, v43
	v_sub_f16_e32 v6, v7, v6
	v_add_f16_e32 v7, v32, v38
	v_add_f16_e32 v47, v46, v44
	v_lshrrev_b32_e32 v64, 16, v36
	v_add_f16_e32 v8, v57, v11
	v_sub_f16_e32 v33, v34, v55
	v_sub_f16_e32 v11, v11, v57
	v_add_f16_e32 v34, v55, v34
	v_sub_f16_e32 v48, v32, v38
	v_sub_f16_e32 v53, v46, v44
	;; [unrolled: 1-line block ×6, first 2 shown]
	v_add_f16_e32 v55, v43, v37
	v_add_f16_e32 v57, v6, v5
	v_sub_f16_e32 v66, v43, v37
	v_sub_f16_e32 v68, v6, v5
	v_add_f16_e32 v7, v31, v7
	v_add_f16_e32 v31, v42, v47
	v_sub_f16_e32 v37, v37, v45
	v_sub_f16_e32 v5, v5, v4
	;; [unrolled: 1-line block ×4, first 2 shown]
	v_add_f16_e32 v42, v55, v45
	v_add_f16_e32 v4, v57, v4
	;; [unrolled: 1-line block ×4, first 2 shown]
	v_mul_f16_e32 v38, 0x3a52, v38
	v_mul_f16_e32 v44, 0x3a52, v44
	;; [unrolled: 1-line block ×8, first 2 shown]
	v_fmamk_f16 v7, v7, 0xbcab, v36
	v_fmamk_f16 v31, v31, 0xbcab, v45
	;; [unrolled: 1-line block ×4, first 2 shown]
	v_fma_f16 v47, v48, 0x39e0, -v47
	v_fma_f16 v55, v53, 0x39e0, -v55
	;; [unrolled: 1-line block ×4, first 2 shown]
	v_fmamk_f16 v48, v43, 0xb574, v57
	v_fmamk_f16 v53, v6, 0xb574, v64
	v_fma_f16 v37, v37, 0xbb00, -v57
	v_fma_f16 v5, v5, 0xbb00, -v64
	;; [unrolled: 1-line block ×4, first 2 shown]
	v_add_f16_e32 v32, v32, v7
	v_add_f16_e32 v46, v46, v31
	v_fmac_f16_e32 v48, 0xb70e, v42
	v_fmac_f16_e32 v53, 0xb70e, v4
	v_add_f16_e32 v47, v47, v7
	v_add_f16_e32 v55, v55, v31
	;; [unrolled: 1-line block ×4, first 2 shown]
	v_fmac_f16_e32 v37, 0xb70e, v42
	v_fmac_f16_e32 v6, 0xb70e, v4
	v_fmac_f16_e32 v43, 0xb70e, v42
	v_fmac_f16_e32 v5, 0xb70e, v4
	v_pack_b32_f16 v8, v8, v33
	v_add_f16_e32 v4, v53, v32
	v_sub_f16_e32 v38, v46, v48
	v_pack_b32_f16 v33, v39, v52
	v_pack_b32_f16 v39, v59, v62
	v_add_f16_e32 v42, v6, v7
	v_sub_f16_e32 v44, v31, v43
	v_sub_f16_e32 v57, v47, v5
	v_add_f16_e32 v64, v37, v55
	v_pack_b32_f16 v9, v9, v41
	v_pack_b32_f16 v10, v10, v35
	v_add_f16_e32 v5, v5, v47
	v_sub_f16_e32 v37, v55, v37
	v_sub_f16_e32 v6, v7, v6
	v_add_f16_e32 v7, v43, v31
	v_sub_f16_e32 v31, v32, v53
	v_add_f16_e32 v32, v48, v46
	global_wb scope:SCOPE_SE
	s_barrier_signal -1
	s_barrier_wait -1
	global_inv scope:SCOPE_SE
	ds_store_2addr_b32 v94, v40, v8 offset1:17
	ds_store_2addr_b32 v94, v33, v39 offset0:34 offset1:51
	ds_store_2addr_b32 v94, v9, v10 offset0:68 offset1:85
	v_pack_b32_f16 v8, v11, v34
	v_pack_b32_f16 v9, v36, v45
	;; [unrolled: 1-line block ×8, first 2 shown]
	ds_store_b32 v94, v8 offset:408
	ds_store_2addr_b32 v93, v9, v4 offset1:17
	ds_store_2addr_b32 v93, v10, v11 offset0:34 offset1:51
	ds_store_2addr_b32 v93, v5, v6 offset0:68 offset1:85
	ds_store_b32 v93, v7 offset:408
	s_and_saveexec_b32 s0, vcc_lo
	s_cbranch_execz .LBB0_9
; %bb.8:
	v_lshrrev_b32_e32 v35, 16, v3
	v_lshrrev_b32_e32 v34, 16, v2
	;; [unrolled: 1-line block ×3, first 2 shown]
	v_mul_f16_e64 v4, v91, v137
	v_mul_f16_e32 v5, v92, v114
	v_mul_f16_e32 v6, v35, v107
	;; [unrolled: 1-line block ×3, first 2 shown]
	v_mul_f16_e64 v8, v33, v133
	v_mul_f16_e32 v9, v90, v110
	v_mul_f16_e32 v11, v92, v113
	v_fmac_f16_e64 v4, v0, v136
	v_fmac_f16_e32 v5, v30, v113
	v_fmac_f16_e32 v6, v3, v103
	;; [unrolled: 1-line block ×3, first 2 shown]
	v_fmac_f16_e64 v8, v1, v132
	v_mul_f16_e64 v32, v91, v136
	v_fmac_f16_e32 v9, v29, v108
	v_fma_f16 v11, v30, v114, -v11
	v_mul_f16_e32 v30, v90, v108
	v_sub_f16_e32 v10, v4, v5
	v_sub_f16_e32 v31, v6, v7
	v_mul_f16_e64 v33, v33, v132
	v_fma_f16 v0, v0, v137, -v32
	v_mul_f16_e32 v32, v34, v99
	v_mul_f16_e32 v34, v35, v103
	v_fma_f16 v29, v29, v110, -v30
	v_sub_f16_e32 v30, v8, v9
	v_fma_f16 v1, v1, v133, -v33
	v_fma_f16 v2, v2, v105, -v32
	;; [unrolled: 1-line block ×3, first 2 shown]
	v_sub_f16_e32 v36, v10, v31
	v_sub_f16_e32 v34, v31, v30
	v_add_f16_e32 v31, v31, v30
	v_add_f16_e32 v32, v11, v0
	;; [unrolled: 1-line block ×7, first 2 shown]
	v_sub_f16_e32 v2, v3, v2
	v_sub_f16_e32 v1, v1, v29
	;; [unrolled: 1-line block ×4, first 2 shown]
	v_mul_f16_e32 v34, 0x3846, v34
	v_add_f16_e32 v37, v33, v32
	v_sub_f16_e32 v11, v2, v1
	v_sub_f16_e32 v42, v0, v2
	v_add_f16_e32 v2, v2, v1
	v_mul_f16_e32 v43, 0xbb00, v10
	v_fmamk_f16 v39, v36, 0xb574, v34
	v_fma_f16 v10, v10, 0xbb00, -v34
	v_add_f16_e32 v37, v35, v37
	v_add_f16_e32 v2, v2, v0
	v_sub_f16_e32 v0, v1, v0
	v_fma_f16 v1, v36, 0x3574, -v43
	v_fmac_f16_e32 v39, 0xb70e, v8
	v_fmac_f16_e32 v10, 0xb70e, v8
	v_add_f16_e64 v40, v135, v37
	v_add_f16_e32 v6, v7, v6
	v_fmac_f16_e32 v1, 0xb70e, v8
	scratch_load_b32 v8, off, off th:TH_LOAD_LU ; 4-byte Folded Reload
	v_add_f16_e32 v31, v5, v4
	v_fmamk_f16 v7, v37, 0xbcab, v40
	v_sub_f16_e32 v37, v4, v6
	v_sub_f16_e32 v38, v32, v35
	;; [unrolled: 1-line block ×3, first 2 shown]
	v_add_f16_e32 v31, v6, v31
	v_sub_f16_e32 v6, v6, v5
	v_mul_f16_e32 v3, 0x3a52, v37
	v_mul_f16_e32 v38, 0x3a52, v38
	;; [unrolled: 1-line block ×3, first 2 shown]
	v_add_f16_e64 v29, v134, v31
	v_sub_f16_e32 v32, v33, v32
	v_fmamk_f16 v41, v6, 0x2b26, v3
	v_fmamk_f16 v9, v35, 0x2b26, v38
	v_mul_f16_e32 v35, 0x2b26, v35
	v_fmamk_f16 v31, v31, 0xbcab, v29
	v_mul_f16_e32 v6, 0x2b26, v6
	v_sub_f16_e32 v4, v5, v4
	v_mul_f16_e32 v33, 0xbb00, v0
	v_fma_f16 v5, v32, 0xb9e0, -v38
	v_add_f16_e32 v30, v41, v31
	v_fmamk_f16 v41, v42, 0xb574, v11
	v_fma_f16 v3, v4, 0xb9e0, -v3
	v_fma_f16 v33, v42, 0x3574, -v33
	;; [unrolled: 1-line block ×5, first 2 shown]
	v_add_f16_e32 v9, v9, v7
	v_fmac_f16_e32 v41, 0xb70e, v2
	v_add_f16_e32 v5, v5, v7
	v_add_f16_e32 v3, v3, v31
	v_fmac_f16_e32 v33, 0xb70e, v2
	v_add_f16_e32 v6, v32, v7
	v_fmac_f16_e32 v0, 0xb70e, v2
	v_add_f16_e32 v2, v4, v31
	v_add_f16_e32 v37, v39, v9
	;; [unrolled: 1-line block ×3, first 2 shown]
	v_sub_f16_e32 v1, v5, v1
	v_sub_f16_e32 v7, v3, v33
	;; [unrolled: 1-line block ×3, first 2 shown]
	v_add_f16_e32 v31, v0, v2
	v_add_f16_e32 v6, v10, v6
	;; [unrolled: 1-line block ×3, first 2 shown]
	v_sub_f16_e32 v0, v2, v0
	v_sub_f16_e32 v36, v30, v41
	v_pack_b32_f16 v4, v7, v4
	s_delay_alu instid0(VALU_DEP_4) | instskip(NEXT) | instid1(VALU_DEP_4)
	v_pack_b32_f16 v1, v3, v1
	v_pack_b32_f16 v0, v0, v6
	;; [unrolled: 1-line block ×4, first 2 shown]
	s_wait_loadcnt 0x0
	v_mad_u16 v8, 0x77, v8, v86
	s_delay_alu instid0(VALU_DEP_1) | instskip(SKIP_2) | instid1(VALU_DEP_3)
	v_and_b32_e32 v5, 0xffff, v8
	v_sub_f16_e32 v8, v9, v39
	v_add_f16_e32 v9, v41, v30
	v_lshlrev_b32_e32 v2, 2, v5
	v_pack_b32_f16 v5, v29, v40
	s_delay_alu instid0(VALU_DEP_3)
	v_pack_b32_f16 v8, v9, v8
	ds_store_2addr_b32 v2, v5, v8 offset1:17
	ds_store_2addr_b32 v2, v1, v0 offset0:34 offset1:51
	ds_store_2addr_b32 v2, v3, v4 offset0:68 offset1:85
	ds_store_b32 v2, v6 offset:408
.LBB0_9:
	s_wait_alu 0xfffe
	s_or_b32 exec_lo, exec_lo, s0
	v_add_nc_u32_e32 v6, 0x200, v49
	global_wb scope:SCOPE_SE
	s_wait_dscnt 0x0
	s_barrier_signal -1
	s_barrier_wait -1
	global_inv scope:SCOPE_SE
	ds_load_2addr_b32 v[33:34], v49 offset1:119
	ds_load_2addr_b32 v[7:8], v6 offset0:110 offset1:229
	v_add_nc_u32_e32 v5, 0x600, v49
	v_add_nc_u32_e32 v4, 0xa00, v49
	;; [unrolled: 1-line block ×5, first 2 shown]
	ds_load_2addr_b32 v[9:10], v5 offset0:92 offset1:211
	ds_load_2addr_b32 v[35:36], v4 offset0:74 offset1:193
	;; [unrolled: 1-line block ×4, first 2 shown]
	v_add_nc_u32_e32 v0, 0x1800, v49
	ds_load_2addr_b32 v[41:42], v1 offset0:20 offset1:139
	ds_load_2addr_b32 v[43:44], v0 offset0:130 offset1:249
	ds_load_b32 v45, v49 offset:7616
	s_mov_b32 s8, 0x2e50bc4c
	s_mov_b32 s9, 0x3f40329e
	s_wait_dscnt 0x8
	v_lshrrev_b32_e32 v11, 16, v34
	s_wait_dscnt 0x7
	v_lshrrev_b32_e32 v29, 16, v7
	v_mul_f16_e64 v31, v130, v34
	v_lshrrev_b32_e32 v30, 16, v8
	v_lshrrev_b32_e32 v82, 16, v33
	v_mul_f16_e64 v64, v130, v11
	s_wait_dscnt 0x6
	v_lshrrev_b32_e32 v32, 16, v9
	v_fma_f16 v72, v16, v11, -v31
	v_mul_f16_e64 v11, v129, v7
	v_fmac_f16_e32 v64, v16, v34
	v_mul_f16_e64 v34, v129, v29
	v_mul_f16_e32 v31, v127, v32
	v_lshrrev_b32_e32 v46, 16, v10
	v_mul_f16_e64 v74, v128, v30
	v_mul_f16_e64 v16, v128, v8
	v_fmac_f16_e32 v34, v17, v7
	v_mul_f16_e32 v7, v127, v9
	v_fma_f16 v77, v17, v29, -v11
	v_fmac_f16_e32 v31, v19, v9
	v_add_f16_e32 v9, v64, v33
	s_wait_dscnt 0x5
	v_lshrrev_b32_e32 v47, 16, v35
	v_fma_f16 v32, v19, v32, -v7
	v_add_f16_e32 v7, v72, v82
	v_fmac_f16_e32 v74, v18, v8
	v_fma_f16 v79, v18, v30, -v16
	v_mul_f16_e32 v29, v126, v46
	v_mul_f16_e32 v8, v126, v10
	v_add_f16_e32 v7, v7, v77
	v_add_f16_e32 v9, v9, v34
	v_lshrrev_b32_e32 v48, 16, v36
	s_wait_dscnt 0x4
	v_lshrrev_b32_e32 v52, 16, v37
	v_mul_f16_e32 v16, v116, v47
	v_fmac_f16_e32 v29, v12, v10
	v_fma_f16 v30, v12, v46, -v8
	v_mul_f16_e32 v8, v116, v35
	v_mul_f16_e32 v10, v115, v36
	v_add_f16_e32 v7, v7, v79
	v_add_f16_e32 v11, v9, v74
	v_fmac_f16_e32 v16, v13, v35
	v_fma_f16 v17, v13, v47, -v8
	v_mul_f16_e32 v8, v124, v52
	v_fma_f16 v13, v14, v48, -v10
	v_mul_f16_e32 v10, v124, v37
	v_add_f16_e32 v7, v7, v32
	v_add_f16_e32 v11, v11, v31
	v_lshrrev_b32_e32 v53, 16, v38
	s_wait_dscnt 0x3
	v_lshrrev_b32_e32 v55, 16, v39
	v_mul_f16_e32 v12, v115, v48
	v_fmac_f16_e32 v8, v15, v37
	v_fma_f16 v10, v15, v52, -v10
	v_add_f16_e32 v7, v7, v30
	v_mul_f16_e32 v15, v121, v38
	v_add_f16_e32 v18, v11, v29
	v_fmac_f16_e32 v12, v14, v36
	v_mul_f16_e32 v14, v123, v55
	v_add_f16_e32 v7, v7, v17
	v_fma_f16 v11, v24, v53, -v15
	v_mul_f16_e32 v15, v123, v39
	v_add_f16_e32 v19, v18, v16
	v_lshrrev_b32_e32 v57, 16, v40
	v_mul_f16_e32 v9, v121, v53
	v_fmac_f16_e32 v14, v25, v39
	v_add_f16_e32 v7, v7, v13
	v_fma_f16 v15, v25, v55, -v15
	v_mul_f16_e32 v25, v122, v40
	v_add_f16_e32 v35, v19, v12
	s_wait_dscnt 0x2
	v_lshrrev_b32_e32 v59, 16, v41
	v_fmac_f16_e32 v9, v24, v38
	v_mul_f16_e32 v18, v122, v57
	v_add_f16_e32 v7, v7, v10
	v_fma_f16 v19, v26, v57, -v25
	v_add_f16_e32 v25, v35, v8
	v_lshrrev_b32_e32 v62, 16, v42
	v_fmac_f16_e32 v18, v26, v40
	v_mul_f16_e32 v24, v119, v59
	v_add_f16_e32 v7, v7, v11
	v_mul_f16_e32 v26, v119, v41
	v_add_f16_e32 v36, v25, v9
	s_wait_dscnt 0x1
	v_lshrrev_b32_e32 v66, 16, v43
	v_fmac_f16_e32 v24, v27, v41
	v_mul_f16_e32 v35, v118, v62
	v_add_f16_e32 v7, v7, v15
	v_fma_f16 v25, v27, v59, -v26
	v_mul_f16_e32 v26, v118, v42
	v_add_f16_e32 v27, v36, v14
	v_fmac_f16_e32 v35, v20, v42
	v_add_f16_e32 v7, v7, v19
	v_mul_f16_e32 v36, v120, v66
	v_fma_f16 v20, v20, v62, -v26
	v_mul_f16_e32 v26, v120, v43
	v_add_f16_e32 v27, v27, v18
	v_lshrrev_b32_e32 v68, 16, v44
	v_add_f16_e32 v7, v7, v25
	v_fmac_f16_e32 v36, v21, v43
	v_fma_f16 v21, v21, v66, -v26
	v_add_f16_e32 v26, v27, v24
	s_wait_dscnt 0x0
	v_lshrrev_b32_e32 v70, 16, v45
	v_mul_f16_e32 v37, v117, v44
	v_add_f16_e32 v7, v7, v20
	v_mul_f16_e32 v27, v117, v68
	v_mul_f16_e32 v38, v125, v45
	v_add_f16_e32 v26, v26, v35
	v_fma_f16 v37, v22, v68, -v37
	v_add_f16_e32 v7, v7, v21
	v_fmac_f16_e32 v27, v22, v44
	v_mul_f16_e32 v22, v125, v70
	v_fma_f16 v38, v23, v70, -v38
	v_add_f16_e32 v26, v26, v36
	v_add_f16_e32 v7, v7, v37
	v_sub_f16_e32 v91, v77, v37
	v_fmac_f16_e32 v22, v23, v45
	v_add_f16_e32 v93, v34, v27
	v_add_f16_e32 v23, v26, v27
	v_sub_f16_e32 v26, v72, v38
	v_add_f16_e32 v7, v7, v38
	v_add_f16_e32 v38, v72, v38
	;; [unrolled: 1-line block ×4, first 2 shown]
	v_mul_f16_e32 v40, 0xb5c8, v26
	v_lshlrev_b32_e32 v7, 16, v7
	v_sub_f16_e32 v22, v64, v22
	v_mul_f16_e32 v41, 0x3b76, v38
	v_and_b32_e32 v23, 0xffff, v23
	v_fmamk_f16 v42, v39, 0x3b76, v40
	v_mul_f16_e32 v43, 0xb964, v26
	v_mul_f16_e32 v45, 0x39e9, v38
	;; [unrolled: 1-line block ×15, first 2 shown]
	v_add_f16_e32 v37, v77, v37
	v_or_b32_e32 v7, v7, v23
	v_fmamk_f16 v23, v22, 0x35c8, v41
	v_add_f16_e32 v42, v42, v33
	v_fma_f16 v40, v39, 0x3b76, -v40
	v_fmac_f16_e32 v41, 0xb5c8, v22
	v_fmamk_f16 v44, v39, 0x39e9, v43
	v_fmamk_f16 v47, v22, 0x3964, v45
	v_fma_f16 v43, v39, 0x39e9, -v43
	v_fmac_f16_e32 v45, 0xb964, v22
	v_fmamk_f16 v48, v39, 0x3722, v46
	v_fmamk_f16 v53, v22, 0x3b29, v52
	;; [unrolled: 4-line block ×7, first 2 shown]
	v_fma_f16 v26, v39, 0xbbdd, -v26
	v_fmac_f16_e32 v38, 0xb1e1, v22
	v_sub_f16_e32 v22, v34, v27
	v_fmamk_f16 v27, v93, 0x39e9, v94
	v_mul_f16_e32 v34, 0x39e9, v37
	v_add_f16_e32 v23, v23, v82
	v_add_f16_e32 v40, v40, v33
	;; [unrolled: 1-line block ×32, first 2 shown]
	v_fmamk_f16 v38, v22, 0x3964, v34
	v_mul_f16_e32 v42, 0xbbf7, v91
	v_fma_f16 v77, v93, 0x39e9, -v94
	v_fmac_f16_e32 v34, 0xb964, v22
	v_mul_f16_e32 v82, 0x2de8, v37
	v_add_f16_e32 v23, v38, v23
	v_fmamk_f16 v38, v93, 0x2de8, v42
	v_add_f16_e32 v40, v77, v40
	v_add_f16_e32 v34, v34, v41
	v_fmamk_f16 v41, v22, 0x3bf7, v82
	v_mul_f16_e32 v77, 0xba62, v91
	v_fma_f16 v42, v93, 0x2de8, -v42
	v_fmac_f16_e32 v82, 0xbbf7, v22
	v_add_f16_e32 v38, v38, v44
	v_add_f16_e32 v41, v41, v47
	v_fmamk_f16 v44, v93, 0xb8d2, v77
	v_mul_f16_e32 v47, 0xb8d2, v37
	v_add_f16_e32 v42, v42, v43
	v_add_f16_e32 v43, v82, v45
	v_mul_f16_e32 v45, 0xb1e1, v91
	v_add_f16_e32 v44, v44, v48
	v_fmamk_f16 v48, v22, 0x3a62, v47
	v_fma_f16 v77, v93, 0xb8d2, -v77
	v_fmac_f16_e32 v47, 0xba62, v22
	v_fmamk_f16 v82, v93, 0xbbdd, v45
	v_mul_f16_e32 v92, 0xbbdd, v37
	v_add_f16_e32 v48, v48, v53
	v_add_f16_e32 v46, v77, v46
	;; [unrolled: 1-line block ×4, first 2 shown]
	v_fmamk_f16 v53, v22, 0x31e1, v92
	v_mul_f16_e32 v59, 0x3836, v91
	v_fma_f16 v45, v93, 0xbbdd, -v45
	v_fmac_f16_e32 v92, 0xb1e1, v22
	v_mul_f16_e32 v77, 0xbacd, v37
	v_add_f16_e32 v53, v53, v62
	v_fmamk_f16 v62, v93, 0xbacd, v59
	v_add_f16_e32 v45, v45, v55
	v_add_f16_e32 v55, v92, v57
	v_fmamk_f16 v57, v22, 0xb836, v77
	v_mul_f16_e32 v82, 0x3bb2, v91
	v_fma_f16 v59, v93, 0xbacd, -v59
	v_fmac_f16_e32 v77, 0x3836, v22
	v_add_f16_e32 v62, v62, v66
	v_add_f16_e32 v57, v57, v72
	v_fmamk_f16 v66, v93, 0xb461, v82
	v_add_f16_e32 v59, v59, v64
	v_add_f16_e32 v64, v77, v68
	v_mul_f16_e32 v68, 0x3b29, v91
	v_mul_f16_e32 v72, 0xb461, v37
	v_add_f16_e32 v66, v66, v83
	v_fma_f16 v82, v93, 0xb461, -v82
	v_mul_f16_e32 v92, 0x3722, v37
	v_fmamk_f16 v83, v93, 0x3722, v68
	v_fmamk_f16 v77, v22, 0xbbb2, v72
	v_fmac_f16_e32 v72, 0x3bb2, v22
	v_add_f16_e32 v70, v82, v70
	v_mul_f16_e32 v37, 0x3b76, v37
	v_add_f16_e32 v82, v83, v88
	v_fmamk_f16 v83, v22, 0xbb29, v92
	v_fma_f16 v68, v93, 0x3722, -v68
	v_fmac_f16_e32 v92, 0x3b29, v22
	v_add_f16_e32 v72, v72, v84
	v_mul_f16_e32 v84, 0x35c8, v91
	v_fmamk_f16 v88, v22, 0xb5c8, v37
	v_add_f16_e32 v68, v68, v86
	v_add_f16_e32 v86, v92, v87
	v_sub_f16_e32 v87, v79, v21
	v_add_f16_e32 v21, v79, v21
	v_add_f16_e32 v77, v77, v85
	v_fmamk_f16 v85, v93, 0x3b76, v84
	v_add_f16_e32 v39, v88, v39
	v_add_f16_e32 v88, v74, v36
	v_mul_f16_e32 v79, 0xbb29, v87
	v_fma_f16 v84, v93, 0x3b76, -v84
	v_fmac_f16_e32 v37, 0x35c8, v22
	v_sub_f16_e32 v22, v74, v36
	v_mul_f16_e32 v36, 0x3722, v21
	v_fmamk_f16 v74, v88, 0x3722, v79
	v_add_f16_e32 v26, v84, v26
	v_add_f16_e32 v33, v37, v33
	v_mul_f16_e32 v37, 0xba62, v87
	v_fmamk_f16 v84, v22, 0x3b29, v36
	v_add_f16_e32 v27, v74, v27
	v_fma_f16 v74, v88, 0x3722, -v79
	v_fmac_f16_e32 v36, 0xbb29, v22
	v_fmamk_f16 v79, v88, 0xb8d2, v37
	v_add_f16_e32 v23, v84, v23
	v_mul_f16_e32 v84, 0xb8d2, v21
	v_add_f16_e32 v40, v74, v40
	v_add_f16_e32 v34, v36, v34
	;; [unrolled: 1-line block ×3, first 2 shown]
	v_fma_f16 v37, v88, 0xb8d2, -v37
	v_fmamk_f16 v74, v22, 0x3a62, v84
	v_fmac_f16_e32 v84, 0xba62, v22
	v_mul_f16_e32 v79, 0xbbdd, v21
	v_mul_f16_e32 v38, 0x31e1, v87
	v_add_f16_e32 v37, v37, v42
	v_add_f16_e32 v83, v83, v89
	v_add_f16_e32 v42, v84, v43
	v_fmamk_f16 v43, v22, 0xb1e1, v79
	v_fmamk_f16 v89, v88, 0xbbdd, v38
	v_add_f16_e32 v41, v74, v41
	v_mul_f16_e32 v74, 0x3bb2, v87
	v_fma_f16 v38, v88, 0xbbdd, -v38
	v_fmac_f16_e32 v79, 0x31e1, v22
	v_add_f16_e32 v43, v43, v48
	v_mul_f16_e32 v48, 0xb461, v21
	v_fmamk_f16 v84, v88, 0xb461, v74
	v_add_f16_e32 v38, v38, v46
	v_add_f16_e32 v46, v79, v47
	v_mul_f16_e32 v47, 0x3964, v87
	v_fmamk_f16 v79, v22, 0xbbb2, v48
	v_add_f16_e32 v52, v84, v52
	v_fma_f16 v74, v88, 0xb461, -v74
	v_fmac_f16_e32 v48, 0x3bb2, v22
	v_fmamk_f16 v84, v88, 0x39e9, v47
	v_add_f16_e32 v53, v79, v53
	v_mul_f16_e32 v79, 0x39e9, v21
	v_add_f16_e32 v45, v74, v45
	v_add_f16_e32 v48, v48, v55
	;; [unrolled: 1-line block ×3, first 2 shown]
	v_mul_f16_e32 v62, 0xb5c8, v87
	v_fmamk_f16 v74, v22, 0xb964, v79
	v_fma_f16 v47, v88, 0x39e9, -v47
	v_fmac_f16_e32 v79, 0x3964, v22
	v_mul_f16_e32 v84, 0x3b76, v21
	v_add_f16_e32 v44, v89, v44
	v_fmamk_f16 v89, v88, 0x3b76, v62
	v_add_f16_e32 v57, v74, v57
	v_add_f16_e32 v47, v47, v59
	;; [unrolled: 1-line block ×3, first 2 shown]
	v_fmamk_f16 v64, v22, 0x35c8, v84
	v_mul_f16_e32 v74, 0xbbf7, v87
	v_fma_f16 v62, v88, 0x3b76, -v62
	v_fmac_f16_e32 v84, 0xb5c8, v22
	v_add_f16_e32 v85, v85, v90
	v_add_f16_e32 v64, v64, v77
	v_mul_f16_e32 v77, 0x2de8, v21
	v_fmamk_f16 v79, v88, 0x2de8, v74
	v_add_f16_e32 v62, v62, v70
	v_add_f16_e32 v70, v84, v72
	v_mul_f16_e32 v72, 0xb836, v87
	v_fmamk_f16 v84, v22, 0x3bf7, v77
	v_add_f16_e32 v79, v79, v82
	v_fma_f16 v74, v88, 0x2de8, -v74
	v_fmac_f16_e32 v77, 0xbbf7, v22
	v_fmamk_f16 v82, v88, 0xbacd, v72
	v_mul_f16_e32 v21, 0xbacd, v21
	v_add_f16_e32 v83, v84, v83
	v_add_f16_e32 v68, v74, v68
	;; [unrolled: 1-line block ×4, first 2 shown]
	v_sub_f16_e32 v82, v32, v20
	v_add_f16_e32 v20, v32, v20
	v_fmamk_f16 v84, v22, 0x3836, v21
	v_fma_f16 v72, v88, 0xbacd, -v72
	v_add_f16_e32 v32, v31, v35
	v_mul_f16_e32 v85, 0xbbf7, v82
	v_fmac_f16_e32 v21, 0xb836, v22
	v_sub_f16_e32 v22, v31, v35
	v_mul_f16_e32 v31, 0x2de8, v20
	v_add_f16_e32 v35, v84, v39
	v_fmamk_f16 v39, v32, 0x2de8, v85
	v_add_f16_e32 v26, v72, v26
	v_add_f16_e32 v21, v21, v33
	v_fmamk_f16 v33, v22, 0x3bf7, v31
	v_mul_f16_e32 v72, 0xb1e1, v82
	v_fmac_f16_e32 v31, 0xbbf7, v22
	v_add_f16_e32 v27, v39, v27
	v_fma_f16 v39, v32, 0x2de8, -v85
	v_add_f16_e32 v23, v33, v23
	v_fmamk_f16 v33, v32, 0xbbdd, v72
	v_mul_f16_e32 v84, 0xbbdd, v20
	v_add_f16_e32 v31, v31, v34
	v_mul_f16_e32 v34, 0x3bb2, v82
	v_add_f16_e32 v39, v39, v40
	v_add_f16_e32 v33, v33, v36
	v_fmamk_f16 v36, v22, 0x31e1, v84
	v_fma_f16 v40, v32, 0xbbdd, -v72
	v_fmac_f16_e32 v84, 0xb1e1, v22
	v_fmamk_f16 v72, v32, 0xb461, v34
	v_mul_f16_e32 v85, 0xb461, v20
	v_add_f16_e32 v36, v36, v41
	v_add_f16_e32 v37, v40, v37
	;; [unrolled: 1-line block ×4, first 2 shown]
	v_fmamk_f16 v42, v22, 0xbbb2, v85
	v_mul_f16_e32 v44, 0x35c8, v82
	v_fma_f16 v34, v32, 0xb461, -v34
	v_fmac_f16_e32 v85, 0x3bb2, v22
	v_mul_f16_e32 v72, 0x3b76, v20
	v_add_f16_e32 v42, v42, v43
	v_fmamk_f16 v43, v32, 0x3b76, v44
	v_add_f16_e32 v34, v34, v38
	v_add_f16_e32 v38, v85, v46
	v_fmamk_f16 v46, v22, 0xb5c8, v72
	v_mul_f16_e32 v84, 0xbb29, v82
	v_fma_f16 v44, v32, 0x3b76, -v44
	v_fmac_f16_e32 v72, 0x35c8, v22
	v_add_f16_e32 v43, v43, v52
	v_add_f16_e32 v46, v46, v53
	v_fmamk_f16 v52, v32, 0x3722, v84
	v_mul_f16_e32 v53, 0x3722, v20
	v_add_f16_e32 v44, v44, v45
	v_add_f16_e32 v45, v72, v48
	v_mul_f16_e32 v48, 0xb836, v82
	v_add_f16_e32 v66, v89, v66
	v_add_f16_e32 v52, v52, v55
	v_fmamk_f16 v55, v22, 0x3b29, v53
	v_fma_f16 v72, v32, 0x3722, -v84
	v_fmac_f16_e32 v53, 0xbb29, v22
	v_fmamk_f16 v84, v32, 0xbacd, v48
	v_mul_f16_e32 v85, 0xbacd, v20
	v_add_f16_e32 v55, v55, v57
	v_add_f16_e32 v47, v72, v47
	;; [unrolled: 1-line block ×4, first 2 shown]
	v_fmamk_f16 v59, v22, 0x3836, v85
	v_mul_f16_e32 v66, 0x3a62, v82
	v_fma_f16 v48, v32, 0xbacd, -v48
	v_mul_f16_e32 v72, 0xb8d2, v20
	v_mul_f16_e32 v82, 0x3964, v82
	v_add_f16_e32 v59, v59, v64
	v_fmamk_f16 v64, v32, 0xb8d2, v66
	v_fma_f16 v66, v32, 0xb8d2, -v66
	v_add_f16_e32 v48, v48, v62
	v_fmamk_f16 v62, v22, 0xba62, v72
	v_fmac_f16_e32 v72, 0x3a62, v22
	v_add_f16_e32 v64, v64, v79
	v_fmamk_f16 v79, v32, 0x39e9, v82
	v_add_f16_e32 v66, v66, v68
	v_sub_f16_e32 v68, v30, v25
	v_add_f16_e32 v62, v62, v83
	v_mul_f16_e32 v20, 0x39e9, v20
	v_add_f16_e32 v72, v72, v74
	v_add_f16_e32 v74, v79, v77
	;; [unrolled: 1-line block ×3, first 2 shown]
	v_mul_f16_e32 v83, 0xbbb2, v68
	v_add_f16_e32 v25, v30, v25
	v_fmac_f16_e32 v85, 0xb836, v22
	v_fmamk_f16 v77, v22, 0xb964, v20
	v_fma_f16 v30, v32, 0x39e9, -v82
	v_fmac_f16_e32 v20, 0x3964, v22
	v_sub_f16_e32 v22, v29, v24
	v_fmamk_f16 v24, v79, 0xb461, v83
	v_mul_f16_e32 v29, 0xb461, v25
	v_add_f16_e32 v32, v77, v35
	v_add_f16_e32 v26, v30, v26
	;; [unrolled: 1-line block ×4, first 2 shown]
	v_fmamk_f16 v24, v22, 0x3bb2, v29
	v_mul_f16_e32 v27, 0x3836, v68
	v_fma_f16 v30, v79, 0xb461, -v83
	v_fmac_f16_e32 v29, 0xbbb2, v22
	v_mul_f16_e32 v35, 0xbacd, v25
	v_add_f16_e32 v23, v24, v23
	v_fmamk_f16 v24, v79, 0xbacd, v27
	v_add_f16_e32 v30, v30, v39
	v_add_f16_e32 v29, v29, v31
	v_fmamk_f16 v31, v22, 0xb836, v35
	v_mul_f16_e32 v39, 0x3964, v68
	v_fma_f16 v27, v79, 0xbacd, -v27
	v_add_f16_e32 v24, v24, v33
	v_fmac_f16_e32 v35, 0x3836, v22
	v_add_f16_e32 v31, v31, v36
	v_fmamk_f16 v33, v79, 0x39e9, v39
	v_mul_f16_e32 v36, 0x39e9, v25
	v_add_f16_e32 v27, v27, v37
	v_mul_f16_e32 v37, 0xbb29, v68
	v_add_f16_e32 v35, v35, v40
	v_add_f16_e32 v33, v33, v41
	v_fmamk_f16 v40, v22, 0xb964, v36
	v_fma_f16 v39, v79, 0x39e9, -v39
	v_fmac_f16_e32 v36, 0x3964, v22
	v_fmamk_f16 v41, v79, 0x3722, v37
	v_mul_f16_e32 v77, 0x3722, v25
	v_add_f16_e32 v40, v40, v42
	v_add_f16_e32 v34, v39, v34
	;; [unrolled: 1-line block ×4, first 2 shown]
	v_fmamk_f16 v39, v22, 0x3b29, v77
	v_mul_f16_e32 v41, 0xb1e1, v68
	v_fma_f16 v37, v79, 0x3722, -v37
	v_fmac_f16_e32 v77, 0xbb29, v22
	v_mul_f16_e32 v42, 0xbbdd, v25
	v_add_f16_e32 v39, v39, v46
	v_fmamk_f16 v43, v79, 0xbbdd, v41
	v_add_f16_e32 v37, v37, v44
	v_add_f16_e32 v44, v77, v45
	v_fmamk_f16 v45, v22, 0x31e1, v42
	v_mul_f16_e32 v46, 0x3bf7, v68
	v_fma_f16 v41, v79, 0xbbdd, -v41
	v_add_f16_e32 v43, v43, v52
	v_fmac_f16_e32 v42, 0xb1e1, v22
	v_add_f16_e32 v45, v45, v55
	v_fmamk_f16 v52, v79, 0x2de8, v46
	v_mul_f16_e32 v55, 0x2de8, v25
	v_add_f16_e32 v41, v41, v47
	v_mul_f16_e32 v47, 0xb5c8, v68
	v_add_f16_e32 v70, v85, v70
	v_add_f16_e32 v42, v42, v53
	;; [unrolled: 1-line block ×3, first 2 shown]
	v_fmamk_f16 v53, v22, 0xbbf7, v55
	v_fma_f16 v46, v79, 0x2de8, -v46
	v_fmac_f16_e32 v55, 0x3bf7, v22
	v_fmamk_f16 v57, v79, 0x3b76, v47
	v_mul_f16_e32 v77, 0x3b76, v25
	v_mul_f16_e32 v25, 0xb8d2, v25
	v_add_f16_e32 v53, v53, v59
	v_add_f16_e32 v46, v46, v48
	;; [unrolled: 1-line block ×4, first 2 shown]
	v_fmamk_f16 v57, v22, 0x35c8, v77
	v_mul_f16_e32 v59, 0xba62, v68
	v_fmamk_f16 v64, v22, 0x3a62, v25
	v_sub_f16_e32 v68, v17, v19
	v_add_f16_e32 v17, v17, v19
	v_add_f16_e32 v57, v57, v62
	v_fmamk_f16 v62, v79, 0xb8d2, v59
	v_add_f16_e32 v32, v64, v32
	v_add_f16_e32 v64, v16, v18
	v_fma_f16 v59, v79, 0xb8d2, -v59
	v_sub_f16_e32 v16, v16, v18
	v_mul_f16_e32 v18, 0xb8d2, v17
	v_mul_f16_e32 v19, 0xba62, v68
	v_fmac_f16_e32 v25, 0xba62, v22
	v_add_f16_e32 v26, v59, v26
	v_fmac_f16_e32 v77, 0xb5c8, v22
	v_fmamk_f16 v59, v16, 0x3a62, v18
	v_fmamk_f16 v22, v64, 0xb8d2, v19
	v_add_f16_e32 v20, v25, v20
	v_mul_f16_e32 v25, 0x3bb2, v68
	v_fma_f16 v19, v64, 0xb8d2, -v19
	v_fmac_f16_e32 v18, 0xba62, v16
	v_add_f16_e32 v23, v59, v23
	v_mul_f16_e32 v59, 0xb461, v17
	v_add_f16_e32 v21, v22, v21
	v_fmamk_f16 v22, v64, 0xb461, v25
	v_add_f16_e32 v19, v19, v30
	v_add_f16_e32 v18, v18, v29
	v_fmamk_f16 v29, v16, 0xbbb2, v59
	v_mul_f16_e32 v30, 0x3b76, v17
	v_add_f16_e32 v22, v22, v24
	v_mul_f16_e32 v24, 0xb5c8, v68
	v_fma_f16 v25, v64, 0xb461, -v25
	v_fmac_f16_e32 v59, 0x3bb2, v16
	v_add_f16_e32 v29, v29, v31
	v_fmamk_f16 v31, v16, 0x35c8, v30
	v_fmamk_f16 v70, v64, 0x3b76, v24
	v_add_f16_e32 v25, v25, v27
	v_add_f16_e32 v27, v59, v35
	v_mul_f16_e32 v35, 0xb836, v68
	v_fma_f16 v24, v64, 0x3b76, -v24
	v_fmac_f16_e32 v30, 0xb5c8, v16
	v_add_f16_e32 v31, v31, v40
	v_mul_f16_e32 v40, 0xbacd, v17
	v_fmamk_f16 v59, v64, 0xbacd, v35
	v_add_f16_e32 v24, v24, v34
	v_add_f16_e32 v30, v30, v36
	v_mul_f16_e32 v34, 0x3bf7, v68
	v_fmamk_f16 v36, v16, 0x3836, v40
	v_add_f16_e32 v38, v59, v38
	v_fma_f16 v35, v64, 0xbacd, -v35
	v_fmac_f16_e32 v40, 0xb836, v16
	v_fmamk_f16 v59, v64, 0x2de8, v34
	v_add_f16_e32 v36, v36, v39
	v_mul_f16_e32 v39, 0x2de8, v17
	v_add_f16_e32 v35, v35, v37
	v_add_f16_e32 v37, v40, v44
	;; [unrolled: 1-line block ×3, first 2 shown]
	v_mul_f16_e32 v43, 0xb964, v68
	v_fmamk_f16 v44, v16, 0xbbf7, v39
	v_fma_f16 v34, v64, 0x2de8, -v34
	v_mul_f16_e32 v59, 0x39e9, v17
	v_add_f16_e32 v33, v70, v33
	v_fmac_f16_e32 v39, 0x3bf7, v16
	v_fmamk_f16 v70, v64, 0x39e9, v43
	v_add_f16_e32 v44, v44, v45
	v_add_f16_e32 v34, v34, v41
	v_fmamk_f16 v41, v16, 0x3964, v59
	v_mul_f16_e32 v45, 0xb1e1, v68
	v_fma_f16 v43, v64, 0x39e9, -v43
	v_fmac_f16_e32 v59, 0xb964, v16
	v_fma_f16 v47, v79, 0x3b76, -v47
	v_add_f16_e32 v39, v39, v42
	v_add_f16_e32 v42, v70, v52
	;; [unrolled: 1-line block ×3, first 2 shown]
	v_mul_f16_e32 v52, 0xbbdd, v17
	v_fmamk_f16 v53, v64, 0xbbdd, v45
	v_add_f16_e32 v43, v43, v46
	v_add_f16_e32 v46, v59, v48
	v_mul_f16_e32 v48, 0x3b29, v68
	v_add_f16_e32 v47, v47, v66
	v_add_f16_e32 v66, v77, v72
	;; [unrolled: 1-line block ×3, first 2 shown]
	v_fmamk_f16 v59, v16, 0x31e1, v52
	v_add_f16_e32 v53, v53, v55
	v_fma_f16 v45, v64, 0xbbdd, -v45
	v_fmac_f16_e32 v52, 0xb1e1, v16
	v_fmamk_f16 v55, v64, 0x3722, v48
	v_mul_f16_e32 v17, 0x3722, v17
	v_add_f16_e32 v57, v59, v57
	v_add_f16_e32 v45, v45, v47
	;; [unrolled: 1-line block ×4, first 2 shown]
	v_sub_f16_e32 v55, v13, v15
	v_add_f16_e32 v13, v13, v15
	v_fmamk_f16 v59, v16, 0xbb29, v17
	v_fma_f16 v48, v64, 0x3722, -v48
	v_add_f16_e32 v15, v12, v14
	v_mul_f16_e32 v62, 0xb836, v55
	v_fmac_f16_e32 v17, 0x3b29, v16
	v_sub_f16_e32 v12, v12, v14
	v_mul_f16_e32 v14, 0xbacd, v13
	v_add_f16_e32 v16, v59, v32
	v_fmamk_f16 v32, v15, 0xbacd, v62
	v_add_f16_e32 v26, v48, v26
	v_add_f16_e32 v17, v17, v20
	v_fmamk_f16 v20, v12, 0x3836, v14
	v_mul_f16_e32 v48, 0x3b29, v55
	v_fmac_f16_e32 v14, 0xb836, v12
	v_add_f16_e32 v21, v32, v21
	v_fma_f16 v32, v15, 0xbacd, -v62
	v_add_f16_e32 v20, v20, v23
	v_fmamk_f16 v23, v15, 0x3722, v48
	v_mul_f16_e32 v59, 0x3722, v13
	v_add_f16_e32 v14, v14, v18
	v_mul_f16_e32 v18, 0xbbf7, v55
	v_add_f16_e32 v19, v32, v19
	v_add_f16_e32 v22, v23, v22
	v_fmamk_f16 v23, v12, 0xbb29, v59
	v_fma_f16 v32, v15, 0x3722, -v48
	v_fmamk_f16 v48, v15, 0x2de8, v18
	v_mul_f16_e32 v62, 0x2de8, v13
	v_fmac_f16_e32 v59, 0x3b29, v12
	v_add_f16_e32 v23, v23, v29
	v_add_f16_e32 v25, v32, v25
	;; [unrolled: 1-line block ×3, first 2 shown]
	v_fmamk_f16 v32, v12, 0x3bf7, v62
	v_mul_f16_e32 v33, 0x3a62, v55
	v_fma_f16 v18, v15, 0x2de8, -v18
	v_fmac_f16_e32 v62, 0xbbf7, v12
	v_mul_f16_e32 v48, 0xb8d2, v13
	v_add_f16_e32 v27, v59, v27
	v_add_f16_e32 v31, v32, v31
	v_fmamk_f16 v32, v15, 0xb8d2, v33
	v_add_f16_e32 v18, v18, v24
	v_add_f16_e32 v24, v62, v30
	v_fmamk_f16 v30, v12, 0xba62, v48
	v_mul_f16_e32 v59, 0xb5c8, v55
	v_fma_f16 v33, v15, 0xb8d2, -v33
	v_fmac_f16_e32 v48, 0x3a62, v12
	v_add_f16_e32 v32, v32, v38
	v_add_f16_e32 v30, v30, v36
	v_fmamk_f16 v36, v15, 0x3b76, v59
	v_mul_f16_e32 v38, 0x3b76, v13
	v_add_f16_e32 v33, v33, v35
	v_add_f16_e32 v35, v48, v37
	v_mul_f16_e32 v37, 0xb1e1, v55
	v_add_f16_e32 v36, v36, v40
	v_fmamk_f16 v40, v12, 0x35c8, v38
	v_fma_f16 v48, v15, 0x3b76, -v59
	v_fmac_f16_e32 v38, 0xb5c8, v12
	v_fmamk_f16 v59, v15, 0xbbdd, v37
	v_mul_f16_e32 v62, 0xbbdd, v13
	v_add_f16_e32 v40, v40, v44
	v_add_f16_e32 v34, v48, v34
	;; [unrolled: 1-line block ×4, first 2 shown]
	v_fmamk_f16 v42, v12, 0x31e1, v62
	v_mul_f16_e32 v44, 0x3964, v55
	v_fma_f16 v37, v15, 0xbbdd, -v37
	v_fmac_f16_e32 v62, 0xb1e1, v12
	v_mul_f16_e32 v48, 0x39e9, v13
	v_add_f16_e32 v41, v42, v41
	v_fmamk_f16 v42, v15, 0x39e9, v44
	v_add_f16_e32 v37, v37, v43
	v_add_f16_e32 v43, v62, v46
	v_fmamk_f16 v46, v12, 0xb964, v48
	v_mul_f16_e32 v55, 0xbbb2, v55
	v_fma_f16 v44, v15, 0x39e9, -v44
	v_fmac_f16_e32 v48, 0x3964, v12
	v_add_f16_e32 v42, v42, v53
	v_mul_f16_e32 v13, 0xb461, v13
	v_fmamk_f16 v53, v15, 0xb461, v55
	v_add_f16_e32 v44, v44, v45
	v_add_f16_e32 v45, v48, v47
	v_sub_f16_e32 v47, v10, v11
	v_add_f16_e32 v10, v10, v11
	v_add_f16_e32 v48, v53, v52
	v_fmamk_f16 v52, v12, 0x3bb2, v13
	v_add_f16_e32 v53, v8, v9
	v_mul_f16_e32 v11, 0xb1e1, v47
	v_fmac_f16_e32 v13, 0xbbb2, v12
	v_sub_f16_e32 v8, v8, v9
	v_mul_f16_e32 v9, 0xbbdd, v10
	v_fma_f16 v15, v15, 0xb461, -v55
	v_fmamk_f16 v12, v53, 0xbbdd, v11
	v_add_f16_e32 v13, v13, v17
	v_fma_f16 v11, v53, 0xbbdd, -v11
	v_fmamk_f16 v17, v8, 0x31e1, v9
	v_fmac_f16_e32 v9, 0xb1e1, v8
	v_add_f16_e32 v12, v12, v21
	v_mul_f16_e32 v21, 0x35c8, v47
	v_add_f16_e32 v15, v15, v26
	v_add_f16_e32 v17, v17, v20
	v_mul_f16_e32 v20, 0x3b76, v10
	v_add_f16_e32 v11, v11, v19
	v_fmamk_f16 v26, v53, 0x3b76, v21
	v_add_f16_e32 v9, v9, v14
	v_mul_f16_e32 v14, 0xb836, v47
	v_fmamk_f16 v19, v8, 0xb5c8, v20
	v_fma_f16 v21, v53, 0x3b76, -v21
	v_add_f16_e32 v22, v26, v22
	v_fmac_f16_e32 v20, 0x35c8, v8
	v_fmamk_f16 v26, v53, 0xbacd, v14
	v_add_f16_e32 v19, v19, v23
	v_mul_f16_e32 v23, 0xbacd, v10
	v_add_f16_e32 v21, v21, v25
	v_add_f16_e32 v20, v20, v27
	;; [unrolled: 1-line block ×3, first 2 shown]
	v_mul_f16_e32 v26, 0x3964, v47
	v_fmamk_f16 v27, v8, 0x3836, v23
	v_fma_f16 v14, v53, 0xbacd, -v14
	v_fmac_f16_e32 v23, 0xb836, v8
	v_mul_f16_e32 v29, 0x39e9, v10
	v_add_f16_e32 v16, v52, v16
	v_fmamk_f16 v52, v53, 0x39e9, v26
	v_add_f16_e32 v27, v27, v31
	v_add_f16_e32 v14, v14, v18
	;; [unrolled: 1-line block ×3, first 2 shown]
	v_fmamk_f16 v23, v8, 0xb964, v29
	v_mul_f16_e32 v31, 0xba62, v47
	v_fma_f16 v26, v53, 0x39e9, -v26
	v_add_f16_e32 v24, v52, v32
	v_fmac_f16_e32 v29, 0x3964, v8
	v_add_f16_e32 v23, v23, v30
	v_mul_f16_e32 v30, 0xb8d2, v10
	v_fmamk_f16 v32, v53, 0xb8d2, v31
	v_add_f16_e32 v26, v26, v33
	v_mul_f16_e32 v33, 0x3b29, v47
	v_add_f16_e32 v29, v29, v35
	v_fmamk_f16 v35, v8, 0x3a62, v30
	v_add_f16_e32 v32, v32, v36
	v_fma_f16 v31, v53, 0xb8d2, -v31
	v_fmamk_f16 v36, v53, 0x3722, v33
	v_fmac_f16_e32 v30, 0xba62, v8
	v_add_f16_e32 v35, v35, v40
	v_mul_f16_e32 v40, 0x3722, v10
	v_add_f16_e32 v31, v31, v34
	v_add_f16_e32 v34, v36, v39
	v_mul_f16_e32 v36, 0xbbb2, v47
	v_add_f16_e32 v30, v30, v38
	v_fmamk_f16 v38, v8, 0xbb29, v40
	v_fma_f16 v33, v53, 0x3722, -v33
	v_mul_f16_e32 v39, 0xb461, v10
	v_fmamk_f16 v52, v53, 0xb461, v36
	v_add_f16_e32 v46, v46, v57
	v_fmac_f16_e32 v40, 0x3b29, v8
	v_add_f16_e32 v38, v38, v41
	v_add_f16_e32 v33, v33, v37
	v_fmamk_f16 v37, v8, 0x3bb2, v39
	v_add_f16_e32 v41, v52, v42
	v_mul_f16_e32 v42, 0x3bf7, v47
	v_mul_f16_e32 v10, 0x2de8, v10
	v_add_f16_e32 v40, v40, v43
	v_add_f16_e32 v37, v37, v46
	v_fma_f16 v36, v53, 0xb461, -v36
	v_fmamk_f16 v43, v53, 0x2de8, v42
	v_fmamk_f16 v46, v8, 0xbbf7, v10
	v_fma_f16 v42, v53, 0x2de8, -v42
	v_fmac_f16_e32 v10, 0x3bf7, v8
	v_fmac_f16_e32 v39, 0xbbb2, v8
	v_add_f16_e32 v43, v43, v48
	v_add_f16_e32 v16, v46, v16
	;; [unrolled: 1-line block ×3, first 2 shown]
	v_pack_b32_f16 v8, v12, v17
	v_add_f16_e32 v10, v10, v13
	v_add_f16_e32 v36, v36, v44
	v_add_f16_e32 v39, v39, v45
	v_pack_b32_f16 v12, v22, v19
	v_pack_b32_f16 v17, v25, v27
	;; [unrolled: 1-line block ×6, first 2 shown]
	ds_store_2addr_b32 v49, v7, v8 offset1:119
	ds_store_2addr_b32 v6, v12, v17 offset0:110 offset1:229
	ds_store_2addr_b32 v5, v19, v22 offset0:92 offset1:211
	ds_store_2addr_b32 v4, v23, v24 offset0:74 offset1:193
	v_pack_b32_f16 v7, v43, v16
	v_pack_b32_f16 v8, v15, v10
	;; [unrolled: 1-line block ×9, first 2 shown]
	ds_store_2addr_b32 v3, v7, v8 offset0:56 offset1:175
	ds_store_2addr_b32 v2, v10, v12 offset0:38 offset1:157
	;; [unrolled: 1-line block ×4, first 2 shown]
	ds_store_b32 v49, v9 offset:7616
	global_wb scope:SCOPE_SE
	s_wait_dscnt 0x0
	s_barrier_signal -1
	s_barrier_wait -1
	global_inv scope:SCOPE_SE
	ds_load_2addr_b32 v[7:8], v49 offset1:119
	v_lshrrev_b32_e32 v12, 16, v81
	v_lshrrev_b32_e32 v21, 16, v80
	;; [unrolled: 1-line block ×3, first 2 shown]
	s_wait_dscnt 0x0
	v_lshrrev_b32_e32 v11, 16, v7
	s_delay_alu instid0(VALU_DEP_1) | instskip(NEXT) | instid1(VALU_DEP_1)
	v_mul_f16_e32 v9, v12, v11
	v_fmac_f16_e32 v9, v81, v7
	v_mul_f16_e32 v7, v12, v7
	s_delay_alu instid0(VALU_DEP_2) | instskip(NEXT) | instid1(VALU_DEP_2)
	v_cvt_f32_f16_e32 v9, v9
	v_fma_f16 v7, v81, v11, -v7
	s_delay_alu instid0(VALU_DEP_2) | instskip(NEXT) | instid1(VALU_DEP_2)
	v_cvt_f64_f32_e32 v[9:10], v9
	v_cvt_f32_f16_e32 v7, v7
	s_delay_alu instid0(VALU_DEP_1) | instskip(SKIP_1) | instid1(VALU_DEP_1)
	v_cvt_f64_f32_e32 v[11:12], v7
	v_lshrrev_b32_e32 v7, 16, v8
	v_mul_f16_e32 v13, v21, v7
	s_delay_alu instid0(VALU_DEP_1) | instskip(SKIP_1) | instid1(VALU_DEP_2)
	v_fmac_f16_e32 v13, v80, v8
	v_mul_f16_e32 v8, v21, v8
	v_cvt_f32_f16_e32 v13, v13
	s_delay_alu instid0(VALU_DEP_2) | instskip(NEXT) | instid1(VALU_DEP_2)
	v_fma_f16 v7, v80, v7, -v8
	v_cvt_f64_f32_e32 v[13:14], v13
	s_wait_alu 0xfffe
	v_mul_f64_e32 v[9:10], s[8:9], v[9:10]
	v_mul_f64_e32 v[11:12], s[8:9], v[11:12]
	s_delay_alu instid0(VALU_DEP_2) | instskip(SKIP_2) | instid1(VALU_DEP_3)
	v_and_or_b32 v9, 0x1ff, v10, v9
	v_lshrrev_b32_e32 v15, 8, v10
	v_bfe_u32 v16, v10, 20, 11
	v_cmp_ne_u32_e32 vcc_lo, 0, v9
	v_and_or_b32 v11, 0x1ff, v12, v11
	s_delay_alu instid0(VALU_DEP_3)
	v_add_nc_u32_e32 v21, 0xfffffc10, v16
	v_lshrrev_b32_e32 v19, 8, v12
	v_bfe_u32 v20, v12, 20, 11
	s_wait_alu 0xfffd
	v_cndmask_b32_e64 v9, 0, 1, vcc_lo
	v_cmp_ne_u32_e32 vcc_lo, 0, v11
	v_lshrrev_b32_e32 v12, 16, v12
	s_delay_alu instid0(VALU_DEP_3)
	v_and_or_b32 v9, 0xffe, v15, v9
	v_sub_nc_u32_e32 v15, 0x3f1, v16
	v_cvt_f32_f16_e32 v16, v7
	v_mul_f64_e32 v[7:8], s[8:9], v[13:14]
	s_wait_alu 0xfffd
	v_cndmask_b32_e64 v11, 0, 1, vcc_lo
	v_or_b32_e32 v17, 0x1000, v9
	v_med3_i32 v15, v15, 0, 13
	v_cvt_f64_f32_e32 v[13:14], v16
	s_delay_alu instid0(VALU_DEP_4) | instskip(SKIP_1) | instid1(VALU_DEP_4)
	v_and_or_b32 v11, 0xffe, v19, v11
	v_sub_nc_u32_e32 v19, 0x3f1, v20
	v_lshrrev_b32_e32 v18, v15, v17
	s_delay_alu instid0(VALU_DEP_3) | instskip(NEXT) | instid1(VALU_DEP_2)
	v_or_b32_e32 v22, 0x1000, v11
	v_lshlrev_b32_e32 v15, v15, v18
	s_delay_alu instid0(VALU_DEP_1) | instskip(SKIP_3) | instid1(VALU_DEP_2)
	v_cmp_ne_u32_e32 vcc_lo, v15, v17
	v_med3_i32 v17, v19, 0, 13
	s_wait_alu 0xfffd
	v_cndmask_b32_e64 v15, 0, 1, vcc_lo
	v_lshrrev_b32_e32 v19, v17, v22
	v_cmp_gt_i32_e32 vcc_lo, 1, v21
	s_delay_alu instid0(VALU_DEP_3) | instskip(SKIP_1) | instid1(VALU_DEP_4)
	v_or_b32_e32 v15, v18, v15
	v_lshl_or_b32 v18, v21, 12, v9
	v_lshlrev_b32_e32 v24, v17, v19
	s_wait_alu 0xfffd
	s_delay_alu instid0(VALU_DEP_2) | instskip(SKIP_1) | instid1(VALU_DEP_3)
	v_cndmask_b32_e32 v23, v18, v15, vcc_lo
	v_mad_co_u64_u32 v[15:16], null, s6, v28, 0
	v_cmp_ne_u32_e32 vcc_lo, v24, v22
	ds_load_2addr_b32 v[17:18], v6 offset0:110 offset1:229
	v_and_b32_e32 v25, 7, v23
	v_add_nc_u32_e32 v24, 0xfffffc10, v20
	v_bfe_u32 v26, v8, 20, 11
	s_wait_alu 0xfffd
	v_cndmask_b32_e64 v22, 0, 1, vcc_lo
	v_mov_b32_e32 v6, v16
	v_cmp_lt_i32_e32 vcc_lo, 5, v25
	v_cmp_eq_u32_e64 s0, 3, v25
	v_cmp_gt_i32_e64 s1, 1, v24
	v_or_b32_e32 v16, v19, v22
	v_mad_co_u64_u32 v[19:20], null, s7, v28, v[6:7]
	v_lshrrev_b32_e32 v6, 2, v23
	v_lshl_or_b32 v22, v24, 12, v11
	s_or_b32 vcc_lo, s0, vcc_lo
	v_lshrrev_b32_e32 v28, 16, v78
	s_wait_alu 0xfffe
	v_add_co_ci_u32_e32 v6, vcc_lo, 0, v6, vcc_lo
	v_cndmask_b32_e64 v16, v22, v16, s1
	v_cmp_ne_u32_e32 vcc_lo, 0, v9
	s_wait_dscnt 0x0
	v_lshrrev_b32_e32 v22, 16, v17
	s_delay_alu instid0(VALU_DEP_3)
	v_and_b32_e32 v20, 7, v16
	s_wait_alu 0xfffd
	v_cndmask_b32_e64 v9, 0, 1, vcc_lo
	v_cmp_gt_i32_e32 vcc_lo, 31, v21
	v_lshrrev_b32_e32 v16, 2, v16
	v_mul_f16_e32 v25, v28, v22
	v_cmp_eq_u32_e64 s0, 3, v20
	v_lshl_or_b32 v9, v9, 9, 0x7c00
	s_wait_alu 0xfffd
	v_cndmask_b32_e32 v23, 0x7c00, v6, vcc_lo
	v_cmp_lt_i32_e32 vcc_lo, 5, v20
	v_and_or_b32 v20, 0x1ff, v8, v7
	v_mul_f64_e32 v[6:7], s[8:9], v[13:14]
	v_fmac_f16_e32 v25, v78, v17
	s_or_b32 vcc_lo, s0, vcc_lo
	s_wait_alu 0xfffe
	v_add_co_ci_u32_e32 v16, vcc_lo, 0, v16, vcc_lo
	v_cmp_ne_u32_e32 vcc_lo, 0, v20
	v_cvt_f32_f16_e32 v13, v25
	v_lshrrev_b32_e32 v25, 8, v8
	v_lshrrev_b32_e32 v8, 16, v8
	s_wait_alu 0xfffd
	v_cndmask_b32_e64 v20, 0, 1, vcc_lo
	v_cmp_ne_u32_e32 vcc_lo, 0, v11
	v_cvt_f64_f32_e32 v[13:14], v13
	s_delay_alu instid0(VALU_DEP_3)
	v_and_or_b32 v20, 0xffe, v25, v20
	s_wait_alu 0xfffd
	v_cndmask_b32_e64 v11, 0, 1, vcc_lo
	v_cmp_gt_i32_e32 vcc_lo, 31, v24
	v_sub_nc_u32_e32 v25, 0x3f1, v26
	v_or_b32_e32 v27, 0x1000, v20
	s_delay_alu instid0(VALU_DEP_4)
	v_lshl_or_b32 v11, v11, 9, 0x7c00
	s_wait_alu 0xfffd
	v_cndmask_b32_e32 v16, 0x7c00, v16, vcc_lo
	v_cmp_eq_u32_e32 vcc_lo, 0x40f, v21
	v_med3_i32 v25, v25, 0, 13
	s_wait_alu 0xfffd
	v_cndmask_b32_e32 v21, v23, v9, vcc_lo
	v_cmp_eq_u32_e32 vcc_lo, 0x40f, v24
	v_lshrrev_b32_e32 v23, 16, v10
	v_lshrrev_b32_e32 v24, v25, v27
	v_mad_co_u64_u32 v[9:10], null, s4, v76, 0
	s_wait_alu 0xfffd
	v_dual_cndmask_b32 v11, v16, v11 :: v_dual_mov_b32 v16, v19
	s_delay_alu instid0(VALU_DEP_3) | instskip(SKIP_2) | instid1(VALU_DEP_4)
	v_lshlrev_b32_e32 v19, v25, v24
	v_and_or_b32 v21, 0x8000, v23, v21
	v_and_or_b32 v6, 0x1ff, v7, v6
	;; [unrolled: 1-line block ×3, first 2 shown]
	v_mul_f16_e32 v11, v28, v17
	v_cmp_ne_u32_e32 vcc_lo, v19, v27
	v_and_b32_e32 v21, 0xffff, v21
	v_lshlrev_b64_e32 v[15:16], 2, v[15:16]
	s_delay_alu instid0(VALU_DEP_4)
	v_fma_f16 v17, v78, v22, -v11
	v_mad_co_u64_u32 v[10:11], null, s5, v76, v[10:11]
	s_wait_alu 0xfffd
	v_cndmask_b32_e64 v12, 0, 1, vcc_lo
	v_cmp_ne_u32_e32 vcc_lo, 0, v6
	v_cvt_f32_f16_e32 v11, v17
	v_add_nc_u32_e32 v22, 0xfffffc10, v26
	v_lshrrev_b32_e32 v17, 8, v7
	v_or_b32_e32 v19, v24, v12
	s_wait_alu 0xfffd
	v_cndmask_b32_e64 v6, 0, 1, vcc_lo
	v_cvt_f64_f32_e32 v[11:12], v11
	v_bfe_u32 v24, v7, 20, 11
	v_mul_f64_e32 v[13:14], s[8:9], v[13:14]
	v_lshl_or_b32 v25, v22, 12, v20
	v_and_or_b32 v6, 0xffe, v17, v6
	v_cmp_gt_i32_e32 vcc_lo, 1, v22
	v_sub_nc_u32_e32 v17, 0x3f1, v24
	v_lshl_or_b32 v21, v23, 16, v21
	v_lshlrev_b64_e32 v[9:10], 2, v[9:10]
	s_wait_alu 0xfffd
	v_cndmask_b32_e32 v19, v25, v19, vcc_lo
	v_or_b32_e32 v25, 0x1000, v6
	v_med3_i32 v17, v17, 0, 13
	v_add_co_u32 v27, vcc_lo, s2, v15
	s_delay_alu instid0(VALU_DEP_4)
	v_and_b32_e32 v23, 7, v19
	s_wait_alu 0xfffd
	v_add_co_ci_u32_e32 v28, vcc_lo, s3, v16, vcc_lo
	v_lshrrev_b32_e32 v26, v17, v25
	v_lshrrev_b32_e32 v16, 2, v19
	v_cmp_lt_i32_e32 vcc_lo, 5, v23
	v_cmp_eq_u32_e64 s0, 3, v23
	v_lshrrev_b32_e32 v19, 16, v18
	v_lshlrev_b32_e32 v15, v17, v26
	v_add_nc_u32_e32 v17, 0xfffffc10, v24
	s_mul_u64 s[2:3], s[4:5], 0x1dc
	s_or_b32 vcc_lo, s0, vcc_lo
	v_mul_f16_e32 v24, v30, v19
	v_cmp_ne_u32_e64 s1, v15, v25
	s_wait_alu 0xfffe
	v_add_co_ci_u32_e32 v16, vcc_lo, 0, v16, vcc_lo
	v_cmp_ne_u32_e32 vcc_lo, 0, v20
	v_lshl_or_b32 v23, v17, 12, v6
	s_wait_alu 0xf1ff
	v_cndmask_b32_e64 v15, 0, 1, s1
	v_fmac_f16_e32 v24, v75, v18
	v_cmp_eq_u32_e64 s1, 0x40f, v22
	s_wait_alu 0xfffd
	v_cndmask_b32_e64 v20, 0, 1, vcc_lo
	v_cmp_gt_i32_e32 vcc_lo, 1, v17
	v_or_b32_e32 v15, v26, v15
	v_mul_f64_e32 v[11:12], s[8:9], v[11:12]
	v_and_or_b32 v13, 0x1ff, v14, v13
	v_bfe_u32 v29, v14, 20, 11
	v_lshl_or_b32 v20, v20, 9, 0x7c00
	s_wait_alu 0xfffd
	v_cndmask_b32_e32 v23, v23, v15, vcc_lo
	v_cmp_gt_i32_e32 vcc_lo, 31, v22
	v_cvt_f32_f16_e32 v15, v24
	v_lshrrev_b32_e32 v24, 8, v14
	v_mul_f16_e32 v18, v30, v18
	s_wait_alu 0xfffd
	v_dual_cndmask_b32 v25, 0x7c00, v16 :: v_dual_and_b32 v26, 7, v23
	v_cmp_ne_u32_e32 vcc_lo, 0, v13
	v_cvt_f64_f32_e32 v[15:16], v15
	v_lshrrev_b32_e32 v22, 2, v23
	s_delay_alu instid0(VALU_DEP_4)
	v_cmp_eq_u32_e64 s0, 3, v26
	s_wait_alu 0xf1ff
	v_cndmask_b32_e64 v20, v25, v20, s1
	s_wait_alu 0xfffd
	v_cndmask_b32_e64 v13, 0, 1, vcc_lo
	v_cmp_lt_i32_e32 vcc_lo, 5, v26
	v_lshrrev_b32_e32 v14, 16, v14
	v_lshrrev_b32_e32 v30, 16, v71
	v_and_or_b32 v20, 0x8000, v8, v20
	v_and_or_b32 v13, 0xffe, v24, v13
	v_sub_nc_u32_e32 v24, 0x3f1, v29
	s_or_b32 vcc_lo, s0, vcc_lo
	s_wait_alu 0xfffe
	v_add_co_ci_u32_e32 v22, vcc_lo, 0, v22, vcc_lo
	v_cmp_ne_u32_e32 vcc_lo, 0, v6
	v_or_b32_e32 v23, 0x1000, v13
	v_med3_i32 v24, v24, 0, 13
	v_and_b32_e32 v20, 0xffff, v20
	s_wait_alu 0xfffd
	v_cndmask_b32_e64 v6, 0, 1, vcc_lo
	v_cmp_gt_i32_e32 vcc_lo, 31, v17
	v_lshrrev_b32_e32 v25, v24, v23
	s_delay_alu instid0(VALU_DEP_3)
	v_lshl_or_b32 v6, v6, 9, 0x7c00
	s_wait_alu 0xfffd
	v_cndmask_b32_e32 v22, 0x7c00, v22, vcc_lo
	v_cmp_eq_u32_e32 vcc_lo, 0x40f, v17
	v_lshlrev_b32_e32 v8, v24, v25
	v_and_or_b32 v11, 0x1ff, v12, v11
	v_bfe_u32 v24, v12, 20, 11
	s_wait_alu 0xfffd
	v_cndmask_b32_e32 v22, v22, v6, vcc_lo
	v_fma_f16 v6, v75, v19, -v18
	v_cmp_ne_u32_e32 vcc_lo, v8, v23
	v_lshrrev_b32_e32 v23, 8, v12
	v_add_nc_u32_e32 v19, 0xfffffc10, v29
	s_delay_alu instid0(VALU_DEP_4)
	v_cvt_f32_f16_e32 v6, v6
	s_wait_alu 0xfffd
	v_cndmask_b32_e64 v8, 0, 1, vcc_lo
	v_cmp_ne_u32_e32 vcc_lo, 0, v11
	v_mul_f64_e32 v[15:16], s[8:9], v[15:16]
	v_cvt_f64_f32_e32 v[17:18], v6
	s_delay_alu instid0(VALU_DEP_4)
	v_or_b32_e32 v6, v25, v8
	s_wait_alu 0xfffd
	v_cndmask_b32_e64 v11, 0, 1, vcc_lo
	v_lshl_or_b32 v8, v19, 12, v13
	v_cmp_gt_i32_e32 vcc_lo, 1, v19
	v_lshrrev_b32_e32 v25, 16, v7
	s_delay_alu instid0(VALU_DEP_4)
	v_and_or_b32 v11, 0xffe, v23, v11
	v_sub_nc_u32_e32 v23, 0x3f1, v24
	s_wait_alu 0xfffd
	v_cndmask_b32_e32 v26, v8, v6, vcc_lo
	ds_load_2addr_b32 v[5:6], v5 offset0:92 offset1:211
	v_add_co_u32 v7, vcc_lo, v27, v9
	v_or_b32_e32 v29, 0x1000, v11
	v_med3_i32 v23, v23, 0, 13
	s_wait_alu 0xfffd
	v_add_co_ci_u32_e32 v8, vcc_lo, v28, v10, vcc_lo
	v_and_or_b32 v9, 0x8000, v25, v22
	v_and_b32_e32 v22, 7, v26
	v_lshrrev_b32_e32 v10, v23, v29
	global_store_b32 v[7:8], v21, off
	v_lshrrev_b32_e32 v28, 16, v73
	v_cmp_lt_i32_e32 vcc_lo, 5, v22
	v_lshlrev_b32_e32 v21, v23, v10
	v_cmp_eq_u32_e64 s0, 3, v22
	v_lshl_or_b32 v23, v9, 16, v20
	v_lshrrev_b32_e32 v9, 2, v26
	s_delay_alu instid0(VALU_DEP_4) | instskip(NEXT) | instid1(VALU_DEP_4)
	v_cmp_ne_u32_e64 s1, v21, v29
	s_or_b32 vcc_lo, s0, vcc_lo
	v_add_nc_u32_e32 v21, 0xfffffc10, v24
	s_wait_alu 0xfffe
	v_add_co_ci_u32_e32 v22, vcc_lo, 0, v9, vcc_lo
	v_cndmask_b32_e64 v20, 0, 1, s1
	v_cmp_ne_u32_e32 vcc_lo, 0, v13
	s_wait_dscnt 0x0
	v_lshrrev_b32_e32 v24, 16, v5
	v_lshl_or_b32 v25, v21, 12, v11
	v_and_or_b32 v15, 0x1ff, v16, v15
	v_or_b32_e32 v20, v10, v20
	s_wait_alu 0xfffd
	v_cndmask_b32_e64 v13, 0, 1, vcc_lo
	v_cmp_gt_i32_e32 vcc_lo, 1, v21
	v_mul_f64_e32 v[9:10], s[8:9], v[17:18]
	v_mul_f16_e32 v17, v28, v24
	v_bfe_u32 v26, v16, 20, 11
	v_cmp_eq_u32_e64 s1, 0x40f, v19
	s_wait_alu 0xfffd
	v_cndmask_b32_e32 v20, v25, v20, vcc_lo
	v_cmp_gt_i32_e32 vcc_lo, 31, v19
	v_fmac_f16_e32 v17, v73, v5
	v_lshrrev_b32_e32 v25, 8, v16
	v_lshl_or_b32 v13, v13, 9, 0x7c00
	v_and_b32_e32 v18, 7, v20
	s_wait_alu 0xfffd
	v_cndmask_b32_e32 v22, 0x7c00, v22, vcc_lo
	v_cmp_ne_u32_e32 vcc_lo, 0, v15
	v_cvt_f32_f16_e32 v17, v17
	v_lshrrev_b32_e32 v19, 2, v20
	v_cmp_eq_u32_e64 s0, 3, v18
	s_wait_alu 0xf1ff
	v_cndmask_b32_e64 v13, v22, v13, s1
	s_wait_alu 0xfffd
	v_cndmask_b32_e64 v15, 0, 1, vcc_lo
	v_cmp_lt_i32_e32 vcc_lo, 5, v18
	v_cvt_f64_f32_e32 v[17:18], v17
	v_mul_f16_e32 v5, v28, v5
	v_and_or_b32 v27, 0x8000, v14, v13
	v_and_or_b32 v15, 0xffe, v25, v15
	v_sub_nc_u32_e32 v25, 0x3f1, v26
	s_or_b32 vcc_lo, s0, vcc_lo
	v_fma_f16 v5, v73, v24, -v5
	s_wait_alu 0xfffe
	v_add_co_ci_u32_e32 v19, vcc_lo, 0, v19, vcc_lo
	v_or_b32_e32 v20, 0x1000, v15
	v_med3_i32 v22, v25, 0, 13
	v_cmp_ne_u32_e32 vcc_lo, 0, v11
	v_cvt_f32_f16_e32 v5, v5
	v_add_nc_u32_e32 v24, 0xfffffc10, v26
	v_lshrrev_b32_e32 v16, 16, v16
	v_lshrrev_b32_e32 v25, v22, v20
	s_wait_alu 0xfffd
	v_cndmask_b32_e64 v11, 0, 1, vcc_lo
	v_cmp_gt_i32_e32 vcc_lo, 31, v21
	s_delay_alu instid0(VALU_DEP_3) | instskip(NEXT) | instid1(VALU_DEP_3)
	v_lshlrev_b32_e32 v13, v22, v25
	v_lshl_or_b32 v11, v11, 9, 0x7c00
	s_wait_alu 0xfffd
	v_cndmask_b32_e32 v19, 0x7c00, v19, vcc_lo
	v_cmp_eq_u32_e32 vcc_lo, 0x40f, v21
	v_and_or_b32 v9, 0x1ff, v10, v9
	v_lshrrev_b32_e32 v21, 16, v12
	v_lshrrev_b32_e32 v12, 8, v10
	s_wait_alu 0xfffd
	v_cndmask_b32_e32 v19, v19, v11, vcc_lo
	v_cmp_ne_u32_e32 vcc_lo, v13, v20
	v_bfe_u32 v20, v10, 20, 11
	v_cvt_f64_f32_e32 v[13:14], v5
	s_delay_alu instid0(VALU_DEP_4) | instskip(SKIP_4) | instid1(VALU_DEP_3)
	v_and_or_b32 v19, 0x8000, v21, v19
	s_wait_alu 0xfffd
	v_cndmask_b32_e64 v11, 0, 1, vcc_lo
	v_cmp_ne_u32_e32 vcc_lo, 0, v9
	v_and_b32_e32 v21, 0xffff, v27
	v_or_b32_e32 v22, v25, v11
	s_wait_alu 0xfffd
	v_cndmask_b32_e64 v9, 0, 1, vcc_lo
	v_sub_nc_u32_e32 v25, 0x3f1, v20
	v_cmp_gt_i32_e32 vcc_lo, 1, v24
	v_lshl_or_b32 v21, v19, 16, v21
	s_delay_alu instid0(VALU_DEP_4) | instskip(SKIP_3) | instid1(VALU_DEP_4)
	v_and_or_b32 v9, 0xffe, v12, v9
	v_mul_f64_e32 v[11:12], s[8:9], v[17:18]
	v_lshl_or_b32 v17, v24, 12, v15
	v_med3_i32 v18, v25, 0, 13
	v_or_b32_e32 v5, 0x1000, v9
	s_wait_alu 0xfffd
	s_delay_alu instid0(VALU_DEP_3) | instskip(SKIP_1) | instid1(VALU_DEP_3)
	v_cndmask_b32_e32 v22, v17, v22, vcc_lo
	v_add_co_u32 v7, vcc_lo, v7, s2
	v_lshrrev_b32_e32 v25, v18, v5
	s_wait_alu 0xfffd
	v_add_co_ci_u32_e32 v8, vcc_lo, s3, v8, vcc_lo
	v_and_b32_e32 v19, 7, v22
	v_add_co_u32 v17, vcc_lo, v7, s2
	v_lshlrev_b32_e32 v26, v18, v25
	s_wait_alu 0xfffd
	v_add_co_ci_u32_e32 v18, vcc_lo, s3, v8, vcc_lo
	v_cmp_lt_i32_e32 vcc_lo, 5, v19
	v_cmp_eq_u32_e64 s0, 3, v19
	v_lshrrev_b32_e32 v19, 2, v22
	v_cmp_ne_u32_e64 s1, v26, v5
	v_add_nc_u32_e32 v22, 0xfffffc10, v20
	v_lshrrev_b32_e32 v26, 16, v6
	s_or_b32 vcc_lo, s0, vcc_lo
	v_mul_f64_e32 v[13:14], s[8:9], v[13:14]
	s_wait_alu 0xfffe
	v_add_co_ci_u32_e32 v19, vcc_lo, 0, v19, vcc_lo
	v_cndmask_b32_e64 v5, 0, 1, s1
	v_cmp_ne_u32_e32 vcc_lo, 0, v15
	v_lshl_or_b32 v20, v22, 12, v9
	s_delay_alu instid0(VALU_DEP_3)
	v_or_b32_e32 v5, v25, v5
	v_mul_f16_e32 v25, v30, v26
	s_wait_alu 0xfffd
	v_cndmask_b32_e64 v15, 0, 1, vcc_lo
	v_cmp_gt_i32_e32 vcc_lo, 1, v22
	v_and_or_b32 v11, 0x1ff, v12, v11
	v_fmac_f16_e32 v25, v71, v6
	s_delay_alu instid0(VALU_DEP_4)
	v_lshl_or_b32 v15, v15, 9, 0x7c00
	s_wait_alu 0xfffd
	v_cndmask_b32_e32 v5, v20, v5, vcc_lo
	v_cmp_gt_i32_e32 vcc_lo, 31, v24
	v_lshrrev_b32_e32 v28, 8, v12
	v_bfe_u32 v29, v12, 20, 11
	v_mul_f16_e32 v6, v30, v6
	s_wait_alu 0xfffd
	v_cndmask_b32_e32 v27, 0x7c00, v19, vcc_lo
	v_cvt_f32_f16_e32 v19, v25
	v_cmp_ne_u32_e32 vcc_lo, 0, v11
	v_and_b32_e32 v25, 7, v5
	v_lshrrev_b32_e32 v5, 2, v5
	v_fma_f16 v6, v71, v26, -v6
	v_cvt_f64_f32_e32 v[19:20], v19
	s_wait_alu 0xfffd
	v_cndmask_b32_e64 v11, 0, 1, vcc_lo
	v_cmp_eq_u32_e32 vcc_lo, 0x40f, v24
	v_cmp_eq_u32_e64 s0, 3, v25
	v_sub_nc_u32_e32 v24, 0x3f1, v29
	v_cvt_f32_f16_e32 v6, v6
	v_and_or_b32 v11, 0xffe, v28, v11
	s_wait_alu 0xfffd
	v_cndmask_b32_e32 v15, v27, v15, vcc_lo
	v_cmp_lt_i32_e32 vcc_lo, 5, v25
	v_med3_i32 v24, v24, 0, 13
	v_bfe_u32 v30, v14, 20, 11
	v_or_b32_e32 v25, 0x1000, v11
	v_and_or_b32 v28, 0x8000, v16, v15
	s_or_b32 vcc_lo, s0, vcc_lo
	s_wait_alu 0xfffe
	v_add_co_ci_u32_e32 v5, vcc_lo, 0, v5, vcc_lo
	v_cmp_ne_u32_e32 vcc_lo, 0, v9
	v_lshrrev_b32_e32 v26, v24, v25
	s_wait_alu 0xfffd
	v_cndmask_b32_e64 v9, 0, 1, vcc_lo
	v_cmp_gt_i32_e32 vcc_lo, 31, v22
	s_delay_alu instid0(VALU_DEP_3) | instskip(NEXT) | instid1(VALU_DEP_3)
	v_lshlrev_b32_e32 v15, v24, v26
	v_lshl_or_b32 v9, v9, 9, 0x7c00
	s_wait_alu 0xfffd
	v_cndmask_b32_e32 v27, 0x7c00, v5, vcc_lo
	v_cvt_f64_f32_e32 v[5:6], v6
	v_cmp_eq_u32_e32 vcc_lo, 0x40f, v22
	s_wait_alu 0xfffd
	s_delay_alu instid0(VALU_DEP_3)
	v_cndmask_b32_e32 v22, v27, v9, vcc_lo
	v_and_or_b32 v9, 0x1ff, v14, v13
	v_cmp_ne_u32_e32 vcc_lo, v15, v25
	v_lshrrev_b32_e32 v13, 16, v10
	v_add_nc_u32_e32 v25, 0xfffffc10, v29
	v_lshrrev_b32_e32 v29, 8, v14
	ds_load_2addr_b32 v[15:16], v4 offset0:74 offset1:193
	s_wait_alu 0xfffd
	v_cndmask_b32_e64 v24, 0, 1, vcc_lo
	v_cmp_ne_u32_e32 vcc_lo, 0, v9
	v_mul_f64_e32 v[9:10], s[8:9], v[19:20]
	v_and_or_b32 v4, 0x8000, v13, v22
	v_lshl_or_b32 v19, v25, 12, v11
	v_or_b32_e32 v13, v26, v24
	s_wait_alu 0xfffd
	v_cndmask_b32_e64 v27, 0, 1, vcc_lo
	v_sub_nc_u32_e32 v22, 0x3f1, v30
	v_cmp_gt_i32_e32 vcc_lo, 1, v25
	v_and_b32_e32 v24, 0xffff, v28
	s_clause 0x1
	global_store_b32 v[7:8], v23, off
	global_store_b32 v[17:18], v21, off
	v_and_or_b32 v20, 0xffe, v29, v27
	v_med3_i32 v22, v22, 0, 13
	s_wait_alu 0xfffd
	v_cndmask_b32_e32 v13, v19, v13, vcc_lo
	v_lshl_or_b32 v21, v4, 16, v24
	v_add_co_u32 v7, vcc_lo, v17, s2
	v_or_b32_e32 v19, 0x1000, v20
	s_delay_alu instid0(VALU_DEP_4)
	v_and_b32_e32 v4, 7, v13
	s_wait_dscnt 0x0
	v_lshrrev_b32_e32 v24, 16, v15
	v_lshrrev_b32_e32 v27, 16, v69
	s_wait_alu 0xfffd
	v_add_co_ci_u32_e32 v8, vcc_lo, s3, v18, vcc_lo
	v_lshrrev_b32_e32 v23, v22, v19
	v_cmp_lt_i32_e32 vcc_lo, 5, v4
	v_cmp_eq_u32_e64 s0, 3, v4
	v_mul_f64_e32 v[4:5], s[8:9], v[5:6]
	v_lshrrev_b32_e32 v13, 2, v13
	v_lshlrev_b32_e32 v17, v22, v23
	v_mul_f16_e32 v6, v27, v24
	s_or_b32 vcc_lo, s0, vcc_lo
	v_lshrrev_b32_e32 v14, 16, v14
	s_wait_alu 0xfffe
	v_add_co_ci_u32_e32 v13, vcc_lo, 0, v13, vcc_lo
	v_cmp_ne_u32_e64 s1, v17, v19
	v_add_nc_u32_e32 v19, 0xfffffc10, v30
	v_fmac_f16_e32 v6, v69, v15
	v_cmp_ne_u32_e32 vcc_lo, 0, v11
	global_store_b32 v[7:8], v21, off
	s_wait_alu 0xf1ff
	v_cndmask_b32_e64 v17, 0, 1, s1
	v_and_or_b32 v9, 0x1ff, v10, v9
	v_cvt_f32_f16_e32 v6, v6
	s_wait_alu 0xfffd
	v_cndmask_b32_e64 v11, 0, 1, vcc_lo
	v_cmp_gt_i32_e32 vcc_lo, 1, v19
	v_or_b32_e32 v22, v23, v17
	v_lshl_or_b32 v23, v19, 12, v20
	v_cvt_f64_f32_e32 v[17:18], v6
	v_lshl_or_b32 v11, v11, 9, 0x7c00
	s_wait_alu 0xfffd
	s_delay_alu instid0(VALU_DEP_3)
	v_cndmask_b32_e32 v6, v23, v22, vcc_lo
	v_cmp_ne_u32_e32 vcc_lo, 0, v9
	v_lshrrev_b32_e32 v22, 8, v10
	v_bfe_u32 v23, v10, 20, 11
	v_lshrrev_b32_e32 v10, 16, v10
	v_and_b32_e32 v26, 7, v6
	s_wait_alu 0xfffd
	v_cndmask_b32_e64 v9, 0, 1, vcc_lo
	v_cmp_gt_i32_e32 vcc_lo, 31, v25
	v_lshrrev_b32_e32 v6, 2, v6
	v_cmp_eq_u32_e64 s0, 3, v26
	s_delay_alu instid0(VALU_DEP_4)
	v_and_or_b32 v9, 0xffe, v22, v9
	s_wait_alu 0xfffd
	v_cndmask_b32_e32 v13, 0x7c00, v13, vcc_lo
	v_sub_nc_u32_e32 v22, 0x3f1, v23
	v_cmp_eq_u32_e32 vcc_lo, 0x40f, v25
	v_and_or_b32 v4, 0x1ff, v5, v4
	v_lshrrev_b32_e32 v25, 16, v12
	v_mul_f16_e32 v12, v27, v15
	v_med3_i32 v22, v22, 0, 13
	s_wait_alu 0xfffd
	v_cndmask_b32_e32 v13, v13, v11, vcc_lo
	v_or_b32_e32 v11, 0x1000, v9
	v_cmp_lt_i32_e32 vcc_lo, 5, v26
	v_fma_f16 v12, v69, v24, -v12
	v_bfe_u32 v24, v5, 20, 11
	v_add_nc_u32_e32 v23, 0xfffffc10, v23
	v_lshrrev_b32_e32 v26, v22, v11
	s_or_b32 vcc_lo, s0, vcc_lo
	v_cvt_f32_f16_e32 v27, v12
	s_wait_alu 0xfffe
	v_add_co_ci_u32_e32 v6, vcc_lo, 0, v6, vcc_lo
	v_lshlrev_b32_e32 v15, v22, v26
	v_cmp_ne_u32_e32 vcc_lo, 0, v4
	v_lshrrev_b32_e32 v22, 8, v5
	v_and_or_b32 v13, 0x8000, v25, v13
	s_wait_alu 0xfffd
	v_cndmask_b32_e64 v4, 0, 1, vcc_lo
	v_cmp_ne_u32_e32 vcc_lo, v15, v11
	v_mul_f64_e32 v[11:12], s[8:9], v[17:18]
	v_cvt_f64_f32_e32 v[17:18], v27
	s_delay_alu instid0(VALU_DEP_4)
	v_and_or_b32 v4, 0xffe, v22, v4
	s_wait_alu 0xfffd
	v_cndmask_b32_e64 v15, 0, 1, vcc_lo
	v_cmp_ne_u32_e32 vcc_lo, 0, v20
	v_sub_nc_u32_e32 v22, 0x3f1, v24
	v_or_b32_e32 v27, 0x1000, v4
	s_delay_alu instid0(VALU_DEP_4)
	v_or_b32_e32 v15, v26, v15
	s_wait_alu 0xfffd
	v_cndmask_b32_e64 v20, 0, 1, vcc_lo
	v_cmp_gt_i32_e32 vcc_lo, 31, v19
	v_lshl_or_b32 v26, v23, 12, v9
	v_med3_i32 v22, v22, 0, 13
	s_delay_alu instid0(VALU_DEP_4)
	v_lshl_or_b32 v20, v20, 9, 0x7c00
	s_wait_alu 0xfffd
	v_cndmask_b32_e32 v6, 0x7c00, v6, vcc_lo
	v_cmp_gt_i32_e32 vcc_lo, 1, v23
	s_wait_alu 0xfffd
	v_cndmask_b32_e32 v15, v26, v15, vcc_lo
	v_lshrrev_b32_e32 v26, v22, v27
	v_cmp_eq_u32_e32 vcc_lo, 0x40f, v19
	s_wait_alu 0xfffd
	s_delay_alu instid0(VALU_DEP_3) | instskip(NEXT) | instid1(VALU_DEP_3)
	v_dual_cndmask_b32 v6, v6, v20 :: v_dual_and_b32 v19, 7, v15
	v_lshlrev_b32_e32 v20, v22, v26
	v_lshrrev_b32_e32 v22, 16, v16
	s_delay_alu instid0(VALU_DEP_3) | instskip(NEXT) | instid1(VALU_DEP_4)
	v_cmp_lt_i32_e32 vcc_lo, 5, v19
	v_and_or_b32 v6, 0x8000, v14, v6
	s_delay_alu instid0(VALU_DEP_4)
	v_cmp_ne_u32_e64 s0, v20, v27
	v_lshrrev_b32_e32 v27, 16, v5
	v_and_or_b32 v11, 0x1ff, v12, v11
	v_bfe_u32 v25, v12, 20, 11
	s_wait_alu 0xf1ff
	v_cndmask_b32_e64 v14, 0, 1, s0
	v_cmp_eq_u32_e64 s0, 3, v19
	v_and_b32_e32 v19, 0xffff, v13
	v_lshrrev_b32_e32 v13, 2, v15
	s_delay_alu instid0(VALU_DEP_4) | instskip(NEXT) | instid1(VALU_DEP_4)
	v_or_b32_e32 v14, v26, v14
	s_or_b32 vcc_lo, s0, vcc_lo
	v_lshrrev_b32_e32 v26, 16, v67
	s_wait_alu 0xfffe
	v_add_co_ci_u32_e32 v21, vcc_lo, 0, v13, vcc_lo
	v_cmp_ne_u32_e32 vcc_lo, 0, v9
	v_lshl_or_b32 v19, v6, 16, v19
	s_wait_alu 0xfffd
	v_cndmask_b32_e64 v9, 0, 1, vcc_lo
	s_delay_alu instid0(VALU_DEP_1) | instskip(SKIP_3) | instid1(VALU_DEP_3)
	v_lshl_or_b32 v9, v9, 9, 0x7c00
	v_add_nc_u32_e32 v20, 0xfffffc10, v24
	v_lshrrev_b32_e32 v24, 8, v12
	v_lshrrev_b32_e32 v12, 16, v12
	v_lshl_or_b32 v15, v20, 12, v4
	v_cmp_gt_i32_e32 vcc_lo, 1, v20
	s_wait_alu 0xfffd
	s_delay_alu instid0(VALU_DEP_2) | instskip(SKIP_2) | instid1(VALU_DEP_3)
	v_cndmask_b32_e32 v15, v15, v14, vcc_lo
	v_mul_f64_e32 v[13:14], s[8:9], v[17:18]
	v_cmp_gt_i32_e32 vcc_lo, 31, v23
	v_and_b32_e32 v18, 7, v15
	v_lshrrev_b32_e32 v15, 2, v15
	s_wait_alu 0xfffd
	v_cndmask_b32_e32 v17, 0x7c00, v21, vcc_lo
	v_mul_f16_e32 v21, v26, v22
	v_cmp_ne_u32_e32 vcc_lo, 0, v11
	v_cmp_eq_u32_e64 s0, 3, v18
	s_delay_alu instid0(VALU_DEP_3) | instskip(SKIP_3) | instid1(VALU_DEP_2)
	v_fmac_f16_e32 v21, v67, v16
	s_wait_alu 0xfffd
	v_cndmask_b32_e64 v11, 0, 1, vcc_lo
	v_cmp_eq_u32_e32 vcc_lo, 0x40f, v23
	v_and_or_b32 v11, 0xffe, v24, v11
	s_wait_alu 0xfffd
	v_cndmask_b32_e32 v9, v17, v9, vcc_lo
	v_cmp_lt_i32_e32 vcc_lo, 5, v18
	v_cvt_f32_f16_e32 v17, v21
	v_sub_nc_u32_e32 v21, 0x3f1, v25
	v_or_b32_e32 v23, 0x1000, v11
	s_or_b32 vcc_lo, s0, vcc_lo
	s_delay_alu instid0(VALU_DEP_3) | instskip(SKIP_4) | instid1(VALU_DEP_2)
	v_cvt_f64_f32_e32 v[17:18], v17
	s_wait_alu 0xfffe
	v_add_co_ci_u32_e32 v15, vcc_lo, 0, v15, vcc_lo
	v_med3_i32 v21, v21, 0, 13
	v_cmp_ne_u32_e32 vcc_lo, 0, v4
	v_lshrrev_b32_e32 v24, v21, v23
	s_wait_alu 0xfffd
	v_cndmask_b32_e64 v4, 0, 1, vcc_lo
	v_cmp_gt_i32_e32 vcc_lo, 31, v20
	s_delay_alu instid0(VALU_DEP_3) | instskip(NEXT) | instid1(VALU_DEP_3)
	v_lshlrev_b32_e32 v6, v21, v24
	v_lshl_or_b32 v4, v4, 9, 0x7c00
	s_wait_alu 0xfffd
	v_cndmask_b32_e32 v15, 0x7c00, v15, vcc_lo
	v_cmp_eq_u32_e32 vcc_lo, 0x40f, v20
	v_and_or_b32 v21, 0x8000, v10, v9
	v_mul_f16_e32 v9, v26, v16
	v_lshrrev_b32_e32 v10, 8, v14
	s_wait_alu 0xfffd
	v_cndmask_b32_e32 v20, v15, v4, vcc_lo
	v_and_or_b32 v4, 0x1ff, v14, v13
	v_cmp_ne_u32_e32 vcc_lo, v6, v23
	v_add_nc_u32_e32 v13, 0xfffffc10, v25
	v_bfe_u32 v23, v14, 20, 11
	v_fma_f16 v9, v67, v22, -v9
	v_lshrrev_b32_e32 v14, 16, v14
	s_wait_alu 0xfffd
	v_cndmask_b32_e64 v6, 0, 1, vcc_lo
	v_cmp_ne_u32_e32 vcc_lo, 0, v4
	v_lshl_or_b32 v15, v13, 12, v11
	v_cvt_f32_f16_e32 v9, v9
	s_delay_alu instid0(VALU_DEP_4) | instskip(SKIP_3) | instid1(VALU_DEP_2)
	v_or_b32_e32 v6, v24, v6
	s_wait_alu 0xfffd
	v_cndmask_b32_e64 v4, 0, 1, vcc_lo
	v_cmp_gt_i32_e32 vcc_lo, 1, v13
	v_and_or_b32 v22, 0xffe, v10, v4
	v_sub_nc_u32_e32 v4, 0x3f1, v23
	s_wait_alu 0xfffd
	v_cndmask_b32_e32 v24, v15, v6, vcc_lo
	v_add_co_u32 v6, vcc_lo, v7, s2
	s_wait_alu 0xfffd
	v_add_co_ci_u32_e32 v7, vcc_lo, s3, v8, vcc_lo
	v_med3_i32 v26, v4, 0, 13
	v_mul_f64_e32 v[4:5], s[8:9], v[17:18]
	v_and_b32_e32 v17, 7, v24
	v_cvt_f64_f32_e32 v[9:10], v9
	v_or_b32_e32 v25, 0x1000, v22
	ds_load_2addr_b32 v[15:16], v3 offset0:56 offset1:175
	v_and_or_b32 v3, 0x8000, v27, v20
	v_cmp_lt_i32_e32 vcc_lo, 5, v17
	v_cmp_eq_u32_e64 s0, 3, v17
	v_lshrrev_b32_e32 v17, 2, v24
	v_lshrrev_b32_e32 v18, v26, v25
	v_and_b32_e32 v20, 0xffff, v21
	v_add_nc_u32_e32 v21, 0xfffffc10, v23
	s_or_b32 vcc_lo, s0, vcc_lo
	v_lshrrev_b32_e32 v27, 16, v60
	s_wait_alu 0xfffe
	v_add_co_ci_u32_e32 v17, vcc_lo, 0, v17, vcc_lo
	v_cmp_ne_u32_e32 vcc_lo, 0, v11
	v_lshl_or_b32 v20, v3, 16, v20
	s_wait_alu 0xfffd
	v_cndmask_b32_e64 v11, 0, 1, vcc_lo
	v_cmp_gt_i32_e32 vcc_lo, 31, v13
	s_wait_dscnt 0x0
	v_lshrrev_b32_e32 v23, 16, v15
	s_delay_alu instid0(VALU_DEP_3) | instskip(SKIP_4) | instid1(VALU_DEP_3)
	v_lshl_or_b32 v11, v11, 9, 0x7c00
	s_wait_alu 0xfffd
	v_dual_cndmask_b32 v17, 0x7c00, v17 :: v_dual_lshlrev_b32 v8, v26, v18
	v_lshrrev_b32_e32 v26, 16, v65
	v_cmp_gt_i32_e32 vcc_lo, 1, v21
	v_cmp_ne_u32_e64 s1, v8, v25
	s_delay_alu instid0(VALU_DEP_3) | instskip(SKIP_1) | instid1(VALU_DEP_2)
	v_mul_f16_e32 v3, v26, v23
	s_wait_alu 0xf1ff
	v_cndmask_b32_e64 v8, 0, 1, s1
	s_delay_alu instid0(VALU_DEP_2) | instskip(SKIP_1) | instid1(VALU_DEP_3)
	v_fmac_f16_e32 v3, v65, v15
	v_and_or_b32 v4, 0x1ff, v5, v4
	v_or_b32_e32 v8, v18, v8
	v_lshl_or_b32 v18, v21, 12, v22
	s_delay_alu instid0(VALU_DEP_4) | instskip(NEXT) | instid1(VALU_DEP_4)
	v_cvt_f32_f16_e32 v3, v3
	v_cmp_ne_u32_e64 s1, 0, v4
	s_wait_alu 0xfffd
	s_delay_alu instid0(VALU_DEP_3) | instskip(SKIP_3) | instid1(VALU_DEP_4)
	v_cndmask_b32_e32 v18, v18, v8, vcc_lo
	v_cmp_eq_u32_e32 vcc_lo, 0x40f, v13
	v_mul_f64_e32 v[8:9], s[8:9], v[9:10]
	v_cvt_f64_f32_e32 v[3:4], v3
	v_lshrrev_b32_e32 v10, 2, v18
	s_wait_alu 0xfffd
	v_cndmask_b32_e32 v13, v17, v11, vcc_lo
	v_and_b32_e32 v11, 7, v18
	v_lshrrev_b32_e32 v17, 8, v5
	v_bfe_u32 v18, v5, 20, 11
	v_lshrrev_b32_e32 v5, 16, v5
	s_delay_alu instid0(VALU_DEP_4) | instskip(SKIP_3) | instid1(VALU_DEP_2)
	v_cmp_lt_i32_e32 vcc_lo, 5, v11
	v_cmp_eq_u32_e64 s0, 3, v11
	s_wait_alu 0xf1ff
	v_cndmask_b32_e64 v11, 0, 1, s1
	s_or_b32 vcc_lo, s0, vcc_lo
	s_delay_alu instid0(VALU_DEP_1)
	v_and_or_b32 v17, 0xffe, v17, v11
	s_wait_alu 0xfffe
	v_add_co_ci_u32_e32 v10, vcc_lo, 0, v10, vcc_lo
	v_cmp_ne_u32_e32 vcc_lo, 0, v22
	v_sub_nc_u32_e32 v11, 0x3f1, v18
	v_or_b32_e32 v24, 0x1000, v17
	v_add_nc_u32_e32 v18, 0xfffffc10, v18
	s_wait_alu 0xfffd
	v_cndmask_b32_e64 v22, 0, 1, vcc_lo
	v_cmp_gt_i32_e32 vcc_lo, 31, v21
	v_med3_i32 v25, v11, 0, 13
	v_mul_f16_e32 v11, v26, v15
	s_delay_alu instid0(VALU_DEP_4)
	v_lshl_or_b32 v22, v22, 9, 0x7c00
	s_wait_alu 0xfffd
	v_cndmask_b32_e32 v10, 0x7c00, v10, vcc_lo
	v_cmp_eq_u32_e32 vcc_lo, 0x40f, v21
	v_lshrrev_b32_e32 v21, v25, v24
	s_wait_alu 0xfffd
	s_delay_alu instid0(VALU_DEP_3) | instskip(SKIP_1) | instid1(VALU_DEP_3)
	v_cndmask_b32_e32 v15, v10, v22, vcc_lo
	v_fma_f16 v22, v65, v23, -v11
	v_lshlrev_b32_e32 v23, v25, v21
	v_add_co_u32 v10, vcc_lo, v6, s2
	s_wait_alu 0xfffd
	v_add_co_ci_u32_e32 v11, vcc_lo, s3, v7, vcc_lo
	v_and_or_b32 v8, 0x1ff, v9, v8
	v_cmp_ne_u32_e32 vcc_lo, v23, v24
	v_and_or_b32 v25, 0x8000, v12, v13
	v_cvt_f32_f16_e32 v12, v22
	v_and_or_b32 v14, 0x8000, v14, v15
	v_lshrrev_b32_e32 v22, 8, v9
	s_wait_alu 0xfffd
	v_cndmask_b32_e64 v15, 0, 1, vcc_lo
	v_cmp_ne_u32_e32 vcc_lo, 0, v8
	v_cvt_f64_f32_e32 v[12:13], v12
	v_bfe_u32 v23, v9, 20, 11
	v_mul_f64_e32 v[3:4], s[8:9], v[3:4]
	v_or_b32_e32 v15, v21, v15
	s_wait_alu 0xfffd
	v_cndmask_b32_e64 v8, 0, 1, vcc_lo
	v_lshl_or_b32 v21, v18, 12, v17
	v_cmp_gt_i32_e32 vcc_lo, 1, v18
	v_and_b32_e32 v24, 0xffff, v25
	global_store_b32 v[6:7], v19, off
	global_store_b32 v[10:11], v20, off
	v_and_or_b32 v8, 0xffe, v22, v8
	v_sub_nc_u32_e32 v22, 0x3f1, v23
	s_wait_alu 0xfffd
	v_cndmask_b32_e32 v15, v21, v15, vcc_lo
	v_lshl_or_b32 v19, v14, 16, v24
	v_add_co_u32 v6, vcc_lo, v10, s2
	v_or_b32_e32 v21, 0x1000, v8
	v_med3_i32 v22, v22, 0, 13
	v_and_b32_e32 v14, 7, v15
	s_wait_alu 0xfffd
	v_add_co_ci_u32_e32 v7, vcc_lo, s3, v11, vcc_lo
	v_lshrrev_b32_e32 v11, 2, v15
	v_lshrrev_b32_e32 v20, v22, v21
	v_cmp_lt_i32_e32 vcc_lo, 5, v14
	v_cmp_eq_u32_e64 s0, 3, v14
	v_lshrrev_b32_e32 v14, 16, v16
	v_lshrrev_b32_e32 v25, 16, v63
	v_lshlrev_b32_e32 v10, v22, v20
	v_lshrrev_b32_e32 v9, 16, v9
	s_or_b32 vcc_lo, s0, vcc_lo
	global_store_b32 v[6:7], v19, off
	s_wait_alu 0xfffe
	v_add_co_ci_u32_e32 v22, vcc_lo, 0, v11, vcc_lo
	v_cmp_ne_u32_e64 s1, v10, v21
	v_add_nc_u32_e32 v21, 0xfffffc10, v23
	v_cmp_gt_i32_e32 vcc_lo, 31, v18
	v_mul_f16_e32 v15, v25, v14
	s_wait_alu 0xf1ff
	v_cndmask_b32_e64 v10, 0, 1, s1
	v_lshl_or_b32 v23, v21, 12, v8
	s_wait_alu 0xfffd
	v_cndmask_b32_e32 v22, 0x7c00, v22, vcc_lo
	v_cmp_gt_i32_e32 vcc_lo, 1, v21
	v_fmac_f16_e32 v15, v63, v16
	v_or_b32_e32 v20, v20, v10
	v_mul_f64_e32 v[10:11], s[8:9], v[12:13]
	v_and_or_b32 v3, 0x1ff, v4, v3
	v_bfe_u32 v24, v4, 20, 11
	v_cvt_f32_f16_e32 v12, v15
	s_wait_alu 0xfffd
	v_cndmask_b32_e32 v20, v23, v20, vcc_lo
	v_cmp_ne_u32_e32 vcc_lo, 0, v17
	v_lshrrev_b32_e32 v23, 8, v4
	v_cmp_eq_u32_e64 s1, 0x40f, v18
	v_cvt_f64_f32_e32 v[12:13], v12
	v_and_b32_e32 v17, 7, v20
	s_wait_alu 0xfffd
	v_cndmask_b32_e64 v15, 0, 1, vcc_lo
	v_cmp_ne_u32_e32 vcc_lo, 0, v3
	v_mul_f16_e32 v16, v25, v16
	v_lshrrev_b32_e32 v4, 16, v4
	v_cmp_eq_u32_e64 s0, 3, v17
	v_lshl_or_b32 v15, v15, 9, 0x7c00
	s_wait_alu 0xfffd
	v_cndmask_b32_e64 v3, 0, 1, vcc_lo
	v_cmp_lt_i32_e32 vcc_lo, 5, v17
	v_fma_f16 v14, v63, v14, -v16
	v_add_nc_u32_e32 v16, 0xfffffc10, v24
	s_wait_alu 0xf1ff
	v_cndmask_b32_e64 v18, v22, v15, s1
	v_and_or_b32 v17, 0xffe, v23, v3
	v_sub_nc_u32_e32 v3, 0x3f1, v24
	v_lshrrev_b32_e32 v15, 2, v20
	s_or_b32 vcc_lo, s0, vcc_lo
	v_cvt_f32_f16_e32 v14, v14
	v_or_b32_e32 v20, 0x1000, v17
	v_med3_i32 v3, v3, 0, 13
	s_wait_alu 0xfffe
	v_add_co_ci_u32_e32 v15, vcc_lo, 0, v15, vcc_lo
	v_cmp_gt_i32_e32 vcc_lo, 31, v21
	v_and_or_b32 v5, 0x8000, v5, v18
	v_lshrrev_b32_e32 v22, v3, v20
	s_wait_alu 0xfffd
	v_cndmask_b32_e32 v23, 0x7c00, v15, vcc_lo
	v_cmp_ne_u32_e32 vcc_lo, 0, v8
	s_delay_alu instid0(VALU_DEP_3)
	v_lshlrev_b32_e32 v3, v3, v22
	v_and_or_b32 v10, 0x1ff, v11, v10
	v_cvt_f64_f32_e32 v[14:15], v14
	v_bfe_u32 v24, v11, 20, 11
	s_wait_alu 0xfffd
	v_cndmask_b32_e64 v8, 0, 1, vcc_lo
	v_cmp_ne_u32_e32 vcc_lo, v3, v20
	v_lshrrev_b32_e32 v20, 8, v11
	v_and_b32_e32 v5, 0xffff, v5
	v_mul_f64_e32 v[12:13], s[8:9], v[12:13]
	s_wait_alu 0xfffd
	v_cndmask_b32_e64 v3, 0, 1, vcc_lo
	v_cmp_ne_u32_e32 vcc_lo, 0, v10
	v_lshl_or_b32 v8, v8, 9, 0x7c00
	s_delay_alu instid0(VALU_DEP_3) | instskip(SKIP_4) | instid1(VALU_DEP_3)
	v_or_b32_e32 v3, v22, v3
	s_wait_alu 0xfffd
	v_cndmask_b32_e64 v10, 0, 1, vcc_lo
	v_lshl_or_b32 v22, v16, 12, v17
	v_cmp_gt_i32_e32 vcc_lo, 1, v16
	v_and_or_b32 v10, 0xffe, v20, v10
	v_sub_nc_u32_e32 v20, 0x3f1, v24
	s_wait_alu 0xfffd
	v_cndmask_b32_e32 v22, v22, v3, vcc_lo
	v_cmp_eq_u32_e32 vcc_lo, 0x40f, v21
	ds_load_2addr_b32 v[2:3], v2 offset0:38 offset1:157
	v_or_b32_e32 v25, 0x1000, v10
	v_med3_i32 v20, v20, 0, 13
	v_and_b32_e32 v18, 7, v22
	s_wait_alu 0xfffd
	v_cndmask_b32_e32 v8, v23, v8, vcc_lo
	s_delay_alu instid0(VALU_DEP_3) | instskip(NEXT) | instid1(VALU_DEP_3)
	v_lshrrev_b32_e32 v21, v20, v25
	v_cmp_lt_i32_e32 vcc_lo, 5, v18
	s_delay_alu instid0(VALU_DEP_3)
	v_and_or_b32 v19, 0x8000, v9, v8
	v_cmp_eq_u32_e64 s0, 3, v18
	v_lshrrev_b32_e32 v9, 2, v22
	v_lshlrev_b32_e32 v8, v20, v21
	v_add_nc_u32_e32 v18, 0xfffffc10, v24
	v_lshl_or_b32 v19, v19, 16, v5
	s_or_b32 vcc_lo, s0, vcc_lo
	s_delay_alu instid0(VALU_DEP_3)
	v_cmp_ne_u32_e64 s1, v8, v25
	s_wait_alu 0xfffe
	v_add_co_ci_u32_e32 v20, vcc_lo, 0, v9, vcc_lo
	v_cmp_ne_u32_e32 vcc_lo, 0, v17
	s_wait_dscnt 0x0
	v_lshrrev_b32_e32 v22, 16, v2
	s_wait_alu 0xf1ff
	v_cndmask_b32_e64 v8, 0, 1, s1
	v_lshrrev_b32_e32 v25, 16, v61
	v_lshl_or_b32 v23, v18, 12, v10
	s_wait_alu 0xfffd
	v_cndmask_b32_e64 v17, 0, 1, vcc_lo
	v_cmp_gt_i32_e32 vcc_lo, 1, v18
	v_or_b32_e32 v21, v21, v8
	v_mul_f64_e32 v[8:9], s[8:9], v[14:15]
	v_mul_f16_e32 v14, v25, v22
	v_and_or_b32 v12, 0x1ff, v13, v12
	v_lshl_or_b32 v17, v17, 9, 0x7c00
	s_wait_alu 0xfffd
	v_cndmask_b32_e32 v21, v23, v21, vcc_lo
	v_cmp_gt_i32_e32 vcc_lo, 31, v16
	v_fmac_f16_e32 v14, v61, v2
	v_cmp_eq_u32_e64 s1, 0x40f, v16
	v_lshrrev_b32_e32 v23, 8, v13
	s_wait_alu 0xfffd
	v_dual_cndmask_b32 v20, 0x7c00, v20 :: v_dual_and_b32 v15, 7, v21
	v_cmp_ne_u32_e32 vcc_lo, 0, v12
	v_cvt_f32_f16_e32 v14, v14
	v_bfe_u32 v24, v13, 20, 11
	s_delay_alu instid0(VALU_DEP_4)
	v_cmp_eq_u32_e64 s0, 3, v15
	s_wait_alu 0xf1ff
	v_cndmask_b32_e64 v16, v20, v17, s1
	s_wait_alu 0xfffd
	v_cndmask_b32_e64 v12, 0, 1, vcc_lo
	v_cmp_lt_i32_e32 vcc_lo, 5, v15
	v_cvt_f64_f32_e32 v[14:15], v14
	v_lshrrev_b32_e32 v17, 2, v21
	v_and_or_b32 v16, 0x8000, v4, v16
	v_and_or_b32 v12, 0xffe, v23, v12
	v_sub_nc_u32_e32 v23, 0x3f1, v24
	s_or_b32 vcc_lo, s0, vcc_lo
	v_mul_f16_e32 v2, v25, v2
	s_wait_alu 0xfffe
	v_add_co_ci_u32_e32 v17, vcc_lo, 0, v17, vcc_lo
	v_or_b32_e32 v20, 0x1000, v12
	v_med3_i32 v21, v23, 0, 13
	v_cmp_ne_u32_e32 vcc_lo, 0, v10
	v_fma_f16 v2, v61, v22, -v2
	v_and_b32_e32 v16, 0xffff, v16
	s_delay_alu instid0(VALU_DEP_4)
	v_lshrrev_b32_e32 v23, v21, v20
	s_wait_alu 0xfffd
	v_cndmask_b32_e64 v10, 0, 1, vcc_lo
	v_cmp_gt_i32_e32 vcc_lo, 31, v18
	v_cvt_f32_f16_e32 v2, v2
	v_lshlrev_b32_e32 v4, v21, v23
	s_delay_alu instid0(VALU_DEP_4)
	v_lshl_or_b32 v10, v10, 9, 0x7c00
	s_wait_alu 0xfffd
	v_cndmask_b32_e32 v17, 0x7c00, v17, vcc_lo
	v_cmp_eq_u32_e32 vcc_lo, 0x40f, v18
	v_and_or_b32 v5, 0x1ff, v9, v8
	v_bfe_u32 v18, v9, 20, 11
	v_add_nc_u32_e32 v21, 0xfffffc10, v24
	v_lshrrev_b32_e32 v8, 16, v11
	s_wait_alu 0xfffd
	v_cndmask_b32_e32 v17, v17, v10, vcc_lo
	v_cmp_ne_u32_e32 vcc_lo, v4, v20
	v_lshrrev_b32_e32 v10, 8, v9
	v_lshrrev_b32_e32 v24, 16, v3
	s_delay_alu instid0(VALU_DEP_4) | instskip(SKIP_3) | instid1(VALU_DEP_2)
	v_and_or_b32 v8, 0x8000, v8, v17
	s_wait_alu 0xfffd
	v_cndmask_b32_e64 v4, 0, 1, vcc_lo
	v_cmp_ne_u32_e32 vcc_lo, 0, v5
	v_or_b32_e32 v20, v23, v4
	s_wait_alu 0xfffd
	v_cndmask_b32_e64 v5, 0, 1, vcc_lo
	v_sub_nc_u32_e32 v23, 0x3f1, v18
	v_cmp_gt_i32_e32 vcc_lo, 1, v21
	v_add_nc_u32_e32 v18, 0xfffffc10, v18
	s_delay_alu instid0(VALU_DEP_4)
	v_and_or_b32 v22, 0xffe, v10, v5
	v_mul_f64_e32 v[4:5], s[8:9], v[14:15]
	v_cvt_f64_f32_e32 v[10:11], v2
	v_lshl_or_b32 v14, v21, 12, v12
	v_med3_i32 v15, v23, 0, 13
	v_or_b32_e32 v2, 0x1000, v22
	v_lshl_or_b32 v23, v8, 16, v16
	s_wait_alu 0xfffd
	v_cndmask_b32_e32 v17, v14, v20, vcc_lo
	v_add_co_u32 v6, vcc_lo, v6, s2
	v_lshrrev_b32_e32 v20, v15, v2
	s_wait_alu 0xfffd
	v_add_co_ci_u32_e32 v7, vcc_lo, s3, v7, vcc_lo
	v_and_b32_e32 v8, 7, v17
	v_add_co_u32 v14, vcc_lo, v6, s2
	v_lshlrev_b32_e32 v16, v15, v20
	s_wait_alu 0xfffd
	v_add_co_ci_u32_e32 v15, vcc_lo, s3, v7, vcc_lo
	v_cmp_lt_i32_e32 vcc_lo, 5, v8
	v_cmp_eq_u32_e64 s0, 3, v8
	v_lshrrev_b32_e32 v8, 2, v17
	v_cmp_ne_u32_e64 s1, v16, v2
	v_mul_f16_e32 v17, v27, v24
	v_lshl_or_b32 v16, v18, 12, v22
	s_or_b32 vcc_lo, s0, vcc_lo
	s_wait_alu 0xfffe
	v_add_co_ci_u32_e32 v8, vcc_lo, 0, v8, vcc_lo
	v_cndmask_b32_e64 v2, 0, 1, s1
	v_cmp_ne_u32_e32 vcc_lo, 0, v12
	v_fmac_f16_e32 v17, v60, v3
	v_mul_f16_e32 v3, v27, v3
	s_delay_alu instid0(VALU_DEP_4)
	v_or_b32_e32 v2, v20, v2
	s_wait_alu 0xfffd
	v_cndmask_b32_e64 v12, 0, 1, vcc_lo
	v_cmp_gt_i32_e32 vcc_lo, 1, v18
	v_fma_f16 v3, v60, v24, -v3
	v_and_or_b32 v4, 0x1ff, v5, v4
	v_mul_f64_e32 v[10:11], s[8:9], v[10:11]
	v_lshl_or_b32 v12, v12, 9, 0x7c00
	s_wait_alu 0xfffd
	v_cndmask_b32_e32 v2, v16, v2, vcc_lo
	v_cmp_gt_i32_e32 vcc_lo, 31, v21
	v_cvt_f32_f16_e32 v16, v17
	v_lshrrev_b32_e32 v25, 8, v5
	v_bfe_u32 v26, v5, 20, 11
	v_and_b32_e32 v20, 7, v2
	s_wait_alu 0xfffd
	v_cndmask_b32_e32 v8, 0x7c00, v8, vcc_lo
	v_cmp_ne_u32_e32 vcc_lo, 0, v4
	v_cvt_f64_f32_e32 v[16:17], v16
	v_lshrrev_b32_e32 v2, 2, v2
	v_cmp_eq_u32_e64 s0, 3, v20
	v_cvt_f32_f16_e32 v3, v3
	s_wait_alu 0xfffd
	v_cndmask_b32_e64 v4, 0, 1, vcc_lo
	v_cmp_eq_u32_e32 vcc_lo, 0x40f, v21
	v_lshrrev_b32_e32 v5, 16, v5
	s_delay_alu instid0(VALU_DEP_3)
	v_and_or_b32 v4, 0xffe, v25, v4
	s_wait_alu 0xfffd
	v_cndmask_b32_e32 v8, v8, v12, vcc_lo
	v_cmp_lt_i32_e32 vcc_lo, 5, v20
	v_lshrrev_b32_e32 v12, 16, v13
	v_sub_nc_u32_e32 v13, 0x3f1, v26
	v_or_b32_e32 v20, 0x1000, v4
	s_or_b32 vcc_lo, s0, vcc_lo
	s_delay_alu instid0(VALU_DEP_3)
	v_and_or_b32 v25, 0x8000, v12, v8
	s_wait_alu 0xfffe
	v_add_co_ci_u32_e32 v2, vcc_lo, 0, v2, vcc_lo
	v_cmp_ne_u32_e32 vcc_lo, 0, v22
	v_med3_i32 v13, v13, 0, 13
	s_wait_alu 0xfffd
	v_cndmask_b32_e64 v21, 0, 1, vcc_lo
	v_cmp_gt_i32_e32 vcc_lo, 31, v18
	s_delay_alu instid0(VALU_DEP_3)
	v_lshrrev_b32_e32 v22, v13, v20
	v_and_or_b32 v10, 0x1ff, v11, v10
	v_bfe_u32 v27, v11, 20, 11
	v_lshl_or_b32 v21, v21, 9, 0x7c00
	s_wait_alu 0xfffd
	v_cndmask_b32_e32 v24, 0x7c00, v2, vcc_lo
	v_cvt_f64_f32_e32 v[2:3], v3
	v_lshlrev_b32_e32 v8, v13, v22
	v_cmp_eq_u32_e32 vcc_lo, 0x40f, v18
	ds_load_2addr_b32 v[12:13], v1 offset0:20 offset1:139
	global_store_b32 v[6:7], v19, off
	global_store_b32 v[14:15], v23, off
	v_lshrrev_b32_e32 v23, 16, v58
	s_wait_alu 0xfffd
	v_cndmask_b32_e32 v18, v24, v21, vcc_lo
	v_cmp_ne_u32_e32 vcc_lo, v8, v20
	v_lshrrev_b32_e32 v21, 16, v9
	v_mul_f64_e32 v[8:9], s[8:9], v[16:17]
	v_add_nc_u32_e32 v24, 0xfffffc10, v26
	v_lshrrev_b32_e32 v26, 8, v11
	s_wait_alu 0xfffd
	v_cndmask_b32_e64 v20, 0, 1, vcc_lo
	v_cmp_ne_u32_e32 vcc_lo, 0, v10
	v_and_or_b32 v1, 0x8000, v21, v18
	v_lshl_or_b32 v17, v24, 12, v4
	v_sub_nc_u32_e32 v18, 0x3f1, v27
	v_or_b32_e32 v16, v22, v20
	s_wait_alu 0xfffd
	v_cndmask_b32_e64 v10, 0, 1, vcc_lo
	v_cmp_gt_i32_e32 vcc_lo, 1, v24
	v_and_b32_e32 v20, 0xffff, v25
	v_med3_i32 v18, v18, 0, 13
	v_lshrrev_b32_e32 v11, 16, v11
	v_and_or_b32 v10, 0xffe, v26, v10
	s_wait_alu 0xfffd
	v_cndmask_b32_e32 v16, v17, v16, vcc_lo
	v_lshl_or_b32 v19, v1, 16, v20
	v_add_co_u32 v6, vcc_lo, v14, s2
	v_or_b32_e32 v17, 0x1000, v10
	s_delay_alu instid0(VALU_DEP_4)
	v_and_b32_e32 v1, 7, v16
	s_wait_alu 0xfffd
	v_add_co_ci_u32_e32 v7, vcc_lo, s3, v15, vcc_lo
	v_lshrrev_b32_e32 v16, 2, v16
	v_lshrrev_b32_e32 v20, v18, v17
	v_cmp_lt_i32_e32 vcc_lo, 5, v1
	v_cmp_eq_u32_e64 s0, 3, v1
	s_wait_dscnt 0x0
	v_lshrrev_b32_e32 v14, 16, v12
	v_mul_f64_e32 v[1:2], s[8:9], v[2:3]
	v_lshlrev_b32_e32 v15, v18, v20
	global_store_b32 v[6:7], v19, off
	s_or_b32 vcc_lo, s0, vcc_lo
	v_mul_f16_e32 v3, v23, v14
	s_wait_alu 0xfffe
	v_add_co_ci_u32_e32 v16, vcc_lo, 0, v16, vcc_lo
	v_cmp_ne_u32_e64 s1, v15, v17
	v_add_nc_u32_e32 v17, 0xfffffc10, v27
	v_cmp_ne_u32_e32 vcc_lo, 0, v4
	v_and_or_b32 v8, 0x1ff, v9, v8
	v_fmac_f16_e32 v3, v58, v12
	s_wait_alu 0xf1ff
	v_cndmask_b32_e64 v15, 0, 1, s1
	v_lshl_or_b32 v18, v17, 12, v10
	v_bfe_u32 v21, v9, 20, 11
	v_mul_f16_e32 v12, v23, v12
	v_cvt_f32_f16_e32 v3, v3
	v_or_b32_e32 v15, v20, v15
	s_wait_alu 0xfffd
	v_cndmask_b32_e64 v20, 0, 1, vcc_lo
	v_cmp_gt_i32_e32 vcc_lo, 1, v17
	v_fma_f16 v12, v58, v14, -v12
	v_cvt_f64_f32_e32 v[3:4], v3
	v_lshrrev_b32_e32 v19, 16, v13
	v_lshl_or_b32 v20, v20, 9, 0x7c00
	s_wait_alu 0xfffd
	v_cndmask_b32_e32 v15, v18, v15, vcc_lo
	v_cmp_ne_u32_e32 vcc_lo, 0, v8
	v_lshrrev_b32_e32 v18, 8, v9
	v_cvt_f32_f16_e32 v12, v12
	v_lshrrev_b32_e32 v9, 16, v9
	v_and_b32_e32 v22, 7, v15
	s_wait_alu 0xfffd
	v_cndmask_b32_e64 v8, 0, 1, vcc_lo
	v_cmp_gt_i32_e32 vcc_lo, 31, v24
	v_lshrrev_b32_e32 v15, 2, v15
	v_cmp_eq_u32_e64 s0, 3, v22
	s_delay_alu instid0(VALU_DEP_4)
	v_and_or_b32 v8, 0xffe, v18, v8
	s_wait_alu 0xfffd
	v_cndmask_b32_e32 v16, 0x7c00, v16, vcc_lo
	v_sub_nc_u32_e32 v18, 0x3f1, v21
	v_cmp_eq_u32_e32 vcc_lo, 0x40f, v24
	v_and_or_b32 v1, 0x1ff, v2, v1
	v_lshrrev_b32_e32 v14, 8, v2
	v_add_nc_u32_e32 v21, 0xfffffc10, v21
	v_med3_i32 v18, v18, 0, 13
	s_wait_alu 0xfffd
	v_cndmask_b32_e32 v16, v16, v20, vcc_lo
	v_or_b32_e32 v20, 0x1000, v8
	v_cmp_lt_i32_e32 vcc_lo, 5, v22
	s_delay_alu instid0(VALU_DEP_3) | instskip(NEXT) | instid1(VALU_DEP_3)
	v_and_or_b32 v5, 0x8000, v5, v16
	v_lshrrev_b32_e32 v22, v18, v20
	s_or_b32 vcc_lo, s0, vcc_lo
	s_wait_alu 0xfffe
	v_add_co_ci_u32_e32 v23, vcc_lo, 0, v15, vcc_lo
	s_delay_alu instid0(VALU_DEP_2)
	v_lshlrev_b32_e32 v15, v18, v22
	v_cmp_ne_u32_e32 vcc_lo, 0, v1
	v_bfe_u32 v18, v2, 20, 11
	v_and_b32_e32 v5, 0xffff, v5
	v_mul_f64_e32 v[3:4], s[8:9], v[3:4]
	s_wait_alu 0xfffd
	v_cndmask_b32_e64 v1, 0, 1, vcc_lo
	v_cmp_ne_u32_e32 vcc_lo, v15, v20
	v_sub_nc_u32_e32 v24, 0x3f1, v18
	v_add_nc_u32_e32 v18, 0xfffffc10, v18
	s_delay_alu instid0(VALU_DEP_4)
	v_and_or_b32 v1, 0xffe, v14, v1
	s_wait_alu 0xfffd
	v_cndmask_b32_e64 v20, 0, 1, vcc_lo
	v_cmp_ne_u32_e32 vcc_lo, 0, v10
	v_cvt_f64_f32_e32 v[14:15], v12
	v_med3_i32 v24, v24, 0, 13
	s_delay_alu instid0(VALU_DEP_4)
	v_or_b32_e32 v12, v22, v20
	s_wait_alu 0xfffd
	v_cndmask_b32_e64 v10, 0, 1, vcc_lo
	v_cmp_gt_i32_e32 vcc_lo, 31, v17
	v_lshl_or_b32 v20, v21, 12, v8
	v_or_b32_e32 v22, 0x1000, v1
	s_delay_alu instid0(VALU_DEP_4)
	v_lshl_or_b32 v10, v10, 9, 0x7c00
	s_wait_alu 0xfffd
	v_cndmask_b32_e32 v23, 0x7c00, v23, vcc_lo
	v_cmp_gt_i32_e32 vcc_lo, 1, v21
	s_wait_alu 0xfffd
	v_cndmask_b32_e32 v12, v20, v12, vcc_lo
	v_lshrrev_b32_e32 v20, v24, v22
	v_cmp_eq_u32_e32 vcc_lo, 0x40f, v17
	s_wait_alu 0xfffd
	s_delay_alu instid0(VALU_DEP_3) | instskip(NEXT) | instid1(VALU_DEP_3)
	v_dual_cndmask_b32 v10, v23, v10 :: v_dual_and_b32 v17, 7, v12
	v_lshlrev_b32_e32 v23, v24, v20
	v_lshrrev_b32_e32 v24, 16, v56
	s_delay_alu instid0(VALU_DEP_3) | instskip(NEXT) | instid1(VALU_DEP_4)
	v_cmp_lt_i32_e32 vcc_lo, 5, v17
	v_and_or_b32 v16, 0x8000, v11, v10
	s_delay_alu instid0(VALU_DEP_4)
	v_cmp_ne_u32_e64 s0, v23, v22
	v_lshrrev_b32_e32 v11, 2, v12
	v_lshl_or_b32 v12, v18, 12, v1
	v_and_or_b32 v3, 0x1ff, v4, v3
	v_bfe_u32 v22, v4, 20, 11
	s_wait_alu 0xf1ff
	v_cndmask_b32_e64 v10, 0, 1, s0
	v_cmp_eq_u32_e64 s0, 3, v17
	v_lshl_or_b32 v16, v16, 16, v5
	s_delay_alu instid0(VALU_DEP_3) | instskip(NEXT) | instid1(VALU_DEP_3)
	v_or_b32_e32 v10, v20, v10
	s_or_b32 vcc_lo, s0, vcc_lo
	v_lshrrev_b32_e32 v20, 8, v4
	s_wait_alu 0xfffe
	v_add_co_ci_u32_e32 v17, vcc_lo, 0, v11, vcc_lo
	v_cmp_ne_u32_e32 vcc_lo, 0, v8
	v_lshrrev_b32_e32 v4, 16, v4
	s_wait_alu 0xfffd
	v_cndmask_b32_e64 v8, 0, 1, vcc_lo
	v_cmp_gt_i32_e32 vcc_lo, 1, v18
	s_delay_alu instid0(VALU_DEP_2)
	v_lshl_or_b32 v8, v8, 9, 0x7c00
	s_wait_alu 0xfffd
	v_cndmask_b32_e32 v12, v12, v10, vcc_lo
	v_cmp_gt_i32_e32 vcc_lo, 31, v21
	v_mul_f64_e32 v[10:11], s[8:9], v[14:15]
	v_mul_f16_e32 v15, v24, v19
	s_wait_alu 0xfffd
	v_cndmask_b32_e32 v14, 0x7c00, v17, vcc_lo
	v_cmp_ne_u32_e32 vcc_lo, 0, v3
	v_and_b32_e32 v17, 7, v12
	v_fmac_f16_e32 v15, v56, v13
	v_lshrrev_b32_e32 v12, 2, v12
	s_wait_alu 0xfffd
	v_cndmask_b32_e64 v3, 0, 1, vcc_lo
	v_cmp_eq_u32_e32 vcc_lo, 0x40f, v21
	v_cmp_eq_u32_e64 s0, 3, v17
	s_delay_alu instid0(VALU_DEP_3)
	v_and_or_b32 v3, 0xffe, v20, v3
	s_wait_alu 0xfffd
	v_cndmask_b32_e32 v8, v14, v8, vcc_lo
	v_cvt_f32_f16_e32 v14, v15
	v_cmp_lt_i32_e32 vcc_lo, 5, v17
	v_sub_nc_u32_e32 v20, 0x3f1, v22
	v_or_b32_e32 v17, 0x1000, v3
	v_and_or_b32 v23, 0x8000, v9, v8
	v_cvt_f64_f32_e32 v[14:15], v14
	s_or_b32 vcc_lo, s0, vcc_lo
	v_med3_i32 v20, v20, 0, 13
	s_wait_alu 0xfffe
	v_add_co_ci_u32_e32 v12, vcc_lo, 0, v12, vcc_lo
	v_cmp_ne_u32_e32 vcc_lo, 0, v1
	v_mul_f16_e32 v8, v24, v13
	v_lshrrev_b32_e32 v21, v20, v17
	v_lshrrev_b32_e32 v24, 16, v54
	s_wait_alu 0xfffd
	v_cndmask_b32_e64 v1, 0, 1, vcc_lo
	v_cmp_gt_i32_e32 vcc_lo, 31, v18
	v_lshlrev_b32_e32 v9, v20, v21
	v_lshrrev_b32_e32 v20, 16, v2
	s_delay_alu instid0(VALU_DEP_4)
	v_lshl_or_b32 v1, v1, 9, 0x7c00
	s_wait_alu 0xfffd
	v_cndmask_b32_e32 v12, 0x7c00, v12, vcc_lo
	v_cmp_eq_u32_e32 vcc_lo, 0x40f, v18
	v_and_or_b32 v2, 0x1ff, v11, v10
	v_add_nc_u32_e32 v10, 0xfffffc10, v22
	s_wait_alu 0xfffd
	v_cndmask_b32_e32 v18, v12, v1, vcc_lo
	v_fma_f16 v1, v56, v19, -v8
	v_cmp_ne_u32_e32 vcc_lo, v9, v17
	v_lshrrev_b32_e32 v12, 8, v11
	v_bfe_u32 v17, v11, 20, 11
	v_lshl_or_b32 v19, v10, 12, v3
	v_cvt_f32_f16_e32 v1, v1
	s_wait_alu 0xfffd
	v_cndmask_b32_e64 v8, 0, 1, vcc_lo
	v_cmp_ne_u32_e32 vcc_lo, 0, v2
	v_lshrrev_b32_e32 v11, 16, v11
	v_cvt_f64_f32_e32 v[1:2], v1
	s_delay_alu instid0(VALU_DEP_4) | instskip(SKIP_3) | instid1(VALU_DEP_2)
	v_or_b32_e32 v13, v21, v8
	s_wait_alu 0xfffd
	v_cndmask_b32_e64 v9, 0, 1, vcc_lo
	v_cmp_gt_i32_e32 vcc_lo, 1, v10
	v_and_or_b32 v21, 0xffe, v12, v9
	ds_load_2addr_b32 v[8:9], v0 offset0:130 offset1:249
	v_sub_nc_u32_e32 v0, 0x3f1, v17
	s_wait_alu 0xfffd
	v_cndmask_b32_e32 v19, v19, v13, vcc_lo
	v_mul_f64_e32 v[12:13], s[8:9], v[14:15]
	v_or_b32_e32 v14, 0x1000, v21
	v_and_or_b32 v15, 0x8000, v20, v18
	v_med3_i32 v0, v0, 0, 13
	v_and_b32_e32 v20, 7, v19
	v_and_b32_e32 v18, 0xffff, v23
	v_add_co_u32 v5, vcc_lo, v6, s2
	s_delay_alu instid0(VALU_DEP_4)
	v_lshrrev_b32_e32 v22, v0, v14
	s_wait_alu 0xfffd
	v_add_co_ci_u32_e32 v6, vcc_lo, s3, v7, vcc_lo
	v_cmp_lt_i32_e32 vcc_lo, 5, v20
	v_cmp_eq_u32_e64 s0, 3, v20
	v_lshlrev_b32_e32 v0, v0, v22
	v_lshl_or_b32 v18, v15, 16, v18
	v_lshrrev_b32_e32 v15, 2, v19
	v_add_nc_u32_e32 v17, 0xfffffc10, v17
	s_wait_dscnt 0x0
	v_lshrrev_b32_e32 v7, 16, v8
	v_cmp_ne_u32_e64 s1, v0, v14
	s_or_b32 vcc_lo, s0, vcc_lo
	s_wait_alu 0xfffe
	v_add_co_ci_u32_e32 v15, vcc_lo, 0, v15, vcc_lo
	s_delay_alu instid0(VALU_DEP_2) | instskip(SKIP_3) | instid1(VALU_DEP_4)
	v_cndmask_b32_e64 v0, 0, 1, s1
	v_mul_f16_e32 v14, v24, v7
	v_cmp_ne_u32_e32 vcc_lo, 0, v3
	v_lshl_or_b32 v20, v17, 12, v21
	v_or_b32_e32 v19, v22, v0
	s_delay_alu instid0(VALU_DEP_4)
	v_fmac_f16_e32 v14, v54, v8
	v_mul_f64_e32 v[0:1], s[8:9], v[1:2]
	s_wait_alu 0xfffd
	v_cndmask_b32_e64 v3, 0, 1, vcc_lo
	v_cmp_gt_i32_e32 vcc_lo, 1, v17
	v_mul_f16_e32 v8, v24, v8
	v_cvt_f32_f16_e32 v2, v14
	s_delay_alu instid0(VALU_DEP_4)
	v_lshl_or_b32 v22, v3, 9, 0x7c00
	s_wait_alu 0xfffd
	v_cndmask_b32_e32 v19, v20, v19, vcc_lo
	v_cmp_gt_i32_e32 vcc_lo, 31, v10
	v_and_or_b32 v12, 0x1ff, v13, v12
	v_cvt_f64_f32_e32 v[2:3], v2
	v_fma_f16 v7, v54, v7, -v8
	v_and_b32_e32 v23, 7, v19
	s_wait_alu 0xfffd
	v_cndmask_b32_e32 v20, 0x7c00, v15, vcc_lo
	v_add_co_u32 v14, vcc_lo, v5, s2
	s_wait_alu 0xfffd
	v_add_co_ci_u32_e32 v15, vcc_lo, s3, v6, vcc_lo
	v_cmp_eq_u32_e32 vcc_lo, 0x40f, v10
	v_cmp_ne_u32_e64 s0, 0, v12
	v_lshrrev_b32_e32 v19, 2, v19
	v_cvt_f32_f16_e32 v7, v7
	global_store_b32 v[5:6], v16, off
	global_store_b32 v[14:15], v18, off
	s_wait_alu 0xfffd
	v_cndmask_b32_e32 v10, v20, v22, vcc_lo
	v_cmp_lt_i32_e32 vcc_lo, 5, v23
	s_wait_alu 0xf1ff
	v_cndmask_b32_e64 v12, 0, 1, s0
	v_cmp_eq_u32_e64 s0, 3, v23
	v_lshrrev_b32_e32 v20, 8, v13
	v_bfe_u32 v22, v13, 20, 11
	v_and_or_b32 v4, 0x8000, v4, v10
	v_lshrrev_b32_e32 v13, 16, v13
	s_or_b32 vcc_lo, s0, vcc_lo
	v_and_or_b32 v12, 0xffe, v20, v12
	s_wait_alu 0xfffe
	v_add_co_ci_u32_e32 v19, vcc_lo, 0, v19, vcc_lo
	v_cmp_ne_u32_e32 vcc_lo, 0, v21
	v_sub_nc_u32_e32 v20, 0x3f1, v22
	v_or_b32_e32 v23, 0x1000, v12
	v_and_or_b32 v0, 0x1ff, v1, v0
	v_and_b32_e32 v4, 0xffff, v4
	s_wait_alu 0xfffd
	v_cndmask_b32_e64 v21, 0, 1, vcc_lo
	v_cmp_gt_i32_e32 vcc_lo, 31, v17
	v_med3_i32 v20, v20, 0, 13
	s_delay_alu instid0(VALU_DEP_3)
	v_lshl_or_b32 v21, v21, 9, 0x7c00
	s_wait_alu 0xfffd
	v_cndmask_b32_e32 v19, 0x7c00, v19, vcc_lo
	v_cmp_eq_u32_e32 vcc_lo, 0x40f, v17
	v_lshrrev_b32_e32 v10, v20, v23
	v_mul_f64_e32 v[2:3], s[8:9], v[2:3]
	s_wait_alu 0xfffd
	v_cndmask_b32_e32 v17, v19, v21, vcc_lo
	v_cmp_ne_u32_e32 vcc_lo, 0, v0
	v_lshlrev_b32_e32 v19, v20, v10
	v_lshrrev_b32_e32 v20, 8, v1
	v_bfe_u32 v21, v1, 20, 11
	v_and_or_b32 v11, 0x8000, v11, v17
	s_wait_alu 0xfffd
	v_cndmask_b32_e64 v0, 0, 1, vcc_lo
	v_cmp_ne_u32_e32 vcc_lo, v19, v23
	v_add_nc_u32_e32 v19, 0xfffffc10, v22
	v_lshrrev_b32_e32 v1, 16, v1
	v_lshl_or_b32 v16, v11, 16, v4
	v_and_or_b32 v0, 0xffe, v20, v0
	v_sub_nc_u32_e32 v20, 0x3f1, v21
	s_wait_alu 0xfffd
	v_cndmask_b32_e64 v8, 0, 1, vcc_lo
	v_lshl_or_b32 v22, v19, 12, v12
	v_cmp_gt_i32_e32 vcc_lo, 1, v19
	v_or_b32_e32 v23, 0x1000, v0
	v_med3_i32 v20, v20, 0, 13
	v_or_b32_e32 v10, v10, v8
	v_cvt_f64_f32_e32 v[7:8], v7
	v_cmp_eq_u32_e64 s1, 0x40f, v19
	s_delay_alu instid0(VALU_DEP_4)
	v_lshrrev_b32_e32 v17, v20, v23
	s_wait_alu 0xfffd
	v_cndmask_b32_e32 v10, v22, v10, vcc_lo
	v_add_co_u32 v4, vcc_lo, v14, s2
	v_lshrrev_b32_e32 v14, 16, v9
	v_lshlrev_b32_e32 v11, v20, v17
	s_delay_alu instid0(VALU_DEP_4)
	v_and_b32_e32 v6, 7, v10
	s_wait_alu 0xfffd
	v_add_co_ci_u32_e32 v5, vcc_lo, s3, v15, vcc_lo
	v_add_nc_u32_e32 v15, 0xfffffc10, v21
	v_cmp_ne_u32_e64 s0, v11, v23
	v_lshrrev_b32_e32 v23, 16, v51
	v_cmp_lt_i32_e32 vcc_lo, 5, v6
	v_and_or_b32 v2, 0x1ff, v3, v2
	v_lshrrev_b32_e32 v20, 8, v3
	s_wait_alu 0xf1ff
	v_cndmask_b32_e64 v11, 0, 1, s0
	v_cmp_eq_u32_e64 s0, 3, v6
	v_lshrrev_b32_e32 v6, 2, v10
	v_mul_f16_e32 v18, v23, v14
	v_bfe_u32 v21, v3, 20, 11
	v_or_b32_e32 v10, v17, v11
	s_or_b32 vcc_lo, s0, vcc_lo
	v_lshl_or_b32 v11, v15, 12, v0
	s_wait_alu 0xfffe
	v_add_co_ci_u32_e32 v17, vcc_lo, 0, v6, vcc_lo
	v_fmac_f16_e32 v18, v51, v9
	v_cmp_gt_i32_e32 vcc_lo, 1, v15
	s_delay_alu instid0(VALU_DEP_2) | instskip(SKIP_3) | instid1(VALU_DEP_3)
	v_cvt_f32_f16_e32 v6, v18
	s_wait_alu 0xfffd
	v_cndmask_b32_e32 v18, v11, v10, vcc_lo
	v_cmp_ne_u32_e32 vcc_lo, 0, v2
	v_cvt_f64_f32_e32 v[10:11], v6
	v_mul_f64_e32 v[6:7], s[8:9], v[7:8]
	s_wait_alu 0xfffd
	v_cndmask_b32_e64 v2, 0, 1, vcc_lo
	v_cmp_ne_u32_e32 vcc_lo, 0, v12
	v_and_b32_e32 v12, 7, v18
	s_delay_alu instid0(VALU_DEP_3)
	v_and_or_b32 v2, 0xffe, v20, v2
	s_wait_alu 0xfffd
	v_cndmask_b32_e64 v8, 0, 1, vcc_lo
	v_cmp_gt_i32_e32 vcc_lo, 31, v19
	v_sub_nc_u32_e32 v20, 0x3f1, v21
	v_cmp_eq_u32_e64 s0, 3, v12
	v_or_b32_e32 v22, 0x1000, v2
	v_lshl_or_b32 v8, v8, 9, 0x7c00
	s_wait_alu 0xfffd
	v_cndmask_b32_e32 v17, 0x7c00, v17, vcc_lo
	v_cmp_lt_i32_e32 vcc_lo, 5, v12
	v_lshrrev_b32_e32 v12, 2, v18
	v_med3_i32 v20, v20, 0, 13
	s_delay_alu instid0(VALU_DEP_4)
	v_cndmask_b32_e64 v8, v17, v8, s1
	s_or_b32 vcc_lo, s0, vcc_lo
	s_wait_alu 0xfffe
	v_add_co_ci_u32_e32 v12, vcc_lo, 0, v12, vcc_lo
	v_lshrrev_b32_e32 v17, v20, v22
	v_cmp_ne_u32_e32 vcc_lo, 0, v0
	v_and_or_b32 v13, 0x8000, v13, v8
	s_delay_alu instid0(VALU_DEP_3) | instskip(SKIP_4) | instid1(VALU_DEP_3)
	v_lshlrev_b32_e32 v18, v20, v17
	s_wait_alu 0xfffd
	v_cndmask_b32_e64 v0, 0, 1, vcc_lo
	v_cmp_gt_i32_e32 vcc_lo, 31, v15
	v_and_b32_e32 v13, 0xffff, v13
	v_lshl_or_b32 v0, v0, 9, 0x7c00
	s_wait_alu 0xfffd
	v_cndmask_b32_e32 v12, 0x7c00, v12, vcc_lo
	v_cmp_ne_u32_e32 vcc_lo, v18, v22
	v_mul_f16_e32 v18, v23, v9
	v_and_or_b32 v6, 0x1ff, v7, v6
	v_lshrrev_b32_e32 v22, 16, v50
	s_wait_alu 0xfffd
	v_cndmask_b32_e64 v8, 0, 1, vcc_lo
	v_cmp_eq_u32_e32 vcc_lo, 0x40f, v15
	v_add_nc_u32_e32 v15, 0xfffffc10, v21
	s_delay_alu instid0(VALU_DEP_3)
	v_or_b32_e32 v17, v17, v8
	s_wait_alu 0xfffd
	v_cndmask_b32_e32 v0, v12, v0, vcc_lo
	ds_load_b32 v12, v49 offset:7616
	v_mul_f64_e32 v[8:9], s[8:9], v[10:11]
	v_lshl_or_b32 v10, v15, 12, v2
	v_fma_f16 v11, v51, v14, -v18
	v_cmp_gt_i32_e32 vcc_lo, 1, v15
	v_lshrrev_b32_e32 v14, 8, v7
	v_and_or_b32 v18, 0x8000, v1, v0
	s_delay_alu instid0(VALU_DEP_4)
	v_cvt_f32_f16_e32 v11, v11
	s_wait_alu 0xfffd
	v_cndmask_b32_e32 v10, v10, v17, vcc_lo
	v_cmp_ne_u32_e32 vcc_lo, 0, v6
	v_bfe_u32 v17, v7, 20, 11
	v_lshl_or_b32 v18, v18, 16, v13
	v_cvt_f64_f32_e32 v[0:1], v11
	v_and_b32_e32 v19, 7, v10
	s_wait_alu 0xfffd
	v_cndmask_b32_e64 v6, 0, 1, vcc_lo
	v_sub_nc_u32_e32 v11, 0x3f1, v17
	v_lshrrev_b32_e32 v10, 2, v10
	v_add_nc_u32_e32 v17, 0xfffffc10, v17
	v_cmp_lt_i32_e32 vcc_lo, 5, v19
	v_and_or_b32 v6, 0xffe, v14, v6
	s_wait_dscnt 0x0
	v_lshrrev_b32_e32 v14, 16, v12
	v_cmp_eq_u32_e64 s0, 3, v19
	v_med3_i32 v11, v11, 0, 13
	v_or_b32_e32 v20, 0x1000, v6
	s_delay_alu instid0(VALU_DEP_4) | instskip(NEXT) | instid1(VALU_DEP_4)
	v_mul_f16_e32 v21, v22, v14
	s_or_b32 vcc_lo, s0, vcc_lo
	s_wait_alu 0xfffe
	v_add_co_ci_u32_e32 v10, vcc_lo, 0, v10, vcc_lo
	v_lshrrev_b32_e32 v13, v11, v20
	v_fmac_f16_e32 v21, v50, v12
	v_cmp_ne_u32_e32 vcc_lo, 0, v2
	v_mul_f16_e32 v12, v22, v12
	s_delay_alu instid0(VALU_DEP_4) | instskip(NEXT) | instid1(VALU_DEP_4)
	v_lshlrev_b32_e32 v19, v11, v13
	v_cvt_f32_f16_e32 v11, v21
	s_wait_alu 0xfffd
	v_cndmask_b32_e64 v2, 0, 1, vcc_lo
	v_cmp_gt_i32_e32 vcc_lo, 31, v15
	v_and_or_b32 v8, 0x1ff, v9, v8
	v_fma_f16 v12, v50, v14, -v12
	v_lshl_or_b32 v14, v17, 12, v6
	v_lshl_or_b32 v2, v2, 9, 0x7c00
	s_wait_alu 0xfffd
	v_cndmask_b32_e32 v21, 0x7c00, v10, vcc_lo
	v_cvt_f64_f32_e32 v[10:11], v11
	v_cmp_ne_u32_e32 vcc_lo, v19, v20
	v_lshrrev_b32_e32 v20, 8, v9
	v_cvt_f32_f16_e32 v12, v12
	s_wait_alu 0xfffd
	v_cndmask_b32_e64 v19, 0, 1, vcc_lo
	v_cmp_ne_u32_e32 vcc_lo, 0, v8
	v_mul_f64_e32 v[0:1], s[8:9], v[0:1]
	s_delay_alu instid0(VALU_DEP_3)
	v_or_b32_e32 v13, v13, v19
	s_wait_alu 0xfffd
	v_cndmask_b32_e64 v8, 0, 1, vcc_lo
	v_bfe_u32 v19, v9, 20, 11
	v_cmp_gt_i32_e32 vcc_lo, 1, v17
	v_lshrrev_b32_e32 v9, 16, v9
	s_delay_alu instid0(VALU_DEP_4) | instskip(NEXT) | instid1(VALU_DEP_4)
	v_and_or_b32 v8, 0xffe, v20, v8
	v_sub_nc_u32_e32 v20, 0x3f1, v19
	s_wait_alu 0xfffd
	v_cndmask_b32_e32 v14, v14, v13, vcc_lo
	v_cmp_eq_u32_e32 vcc_lo, 0x40f, v15
	v_cvt_f64_f32_e32 v[12:13], v12
	v_or_b32_e32 v22, 0x1000, v8
	v_med3_i32 v20, v20, 0, 13
	v_and_b32_e32 v23, 7, v14
	s_wait_alu 0xfffd
	v_cndmask_b32_e32 v15, v21, v2, vcc_lo
	v_add_co_u32 v2, vcc_lo, v4, s2
	v_lshrrev_b32_e32 v24, v20, v22
	v_lshrrev_b32_e32 v21, 16, v3
	s_wait_alu 0xfffd
	v_add_co_ci_u32_e32 v3, vcc_lo, s3, v5, vcc_lo
	v_cmp_lt_i32_e32 vcc_lo, 5, v23
	v_cmp_eq_u32_e64 s0, 3, v23
	v_lshrrev_b32_e32 v14, 2, v14
	v_lshlrev_b32_e32 v20, v20, v24
	v_add_nc_u32_e32 v19, 0xfffffc10, v19
	v_and_or_b32 v15, 0x8000, v21, v15
	s_or_b32 vcc_lo, s0, vcc_lo
	v_mul_f64_e32 v[10:11], s[8:9], v[10:11]
	s_wait_alu 0xfffe
	v_add_co_ci_u32_e32 v14, vcc_lo, 0, v14, vcc_lo
	v_cmp_ne_u32_e64 s1, v20, v22
	v_cmp_ne_u32_e32 vcc_lo, 0, v6
	v_lshl_or_b32 v21, v19, 12, v8
	v_and_or_b32 v0, 0x1ff, v1, v0
	s_wait_alu 0xf1ff
	v_cndmask_b32_e64 v20, 0, 1, s1
	s_wait_alu 0xfffd
	v_cndmask_b32_e64 v6, 0, 1, vcc_lo
	v_cmp_gt_i32_e32 vcc_lo, 31, v17
	v_lshrrev_b32_e32 v22, 8, v1
	v_or_b32_e32 v20, v24, v20
	s_delay_alu instid0(VALU_DEP_4)
	v_lshl_or_b32 v6, v6, 9, 0x7c00
	s_wait_alu 0xfffd
	v_cndmask_b32_e32 v14, 0x7c00, v14, vcc_lo
	v_cmp_gt_i32_e32 vcc_lo, 1, v19
	s_wait_alu 0xfffd
	v_cndmask_b32_e32 v20, v21, v20, vcc_lo
	v_cmp_eq_u32_e32 vcc_lo, 0x40f, v17
	v_lshrrev_b32_e32 v17, 16, v7
	s_wait_alu 0xfffd
	s_delay_alu instid0(VALU_DEP_3) | instskip(SKIP_3) | instid1(VALU_DEP_4)
	v_dual_cndmask_b32 v14, v14, v6 :: v_dual_and_b32 v21, 7, v20
	v_cmp_ne_u32_e32 vcc_lo, 0, v0
	v_mul_f64_e32 v[6:7], s[8:9], v[12:13]
	v_bfe_u32 v12, v1, 20, 11
	v_cmp_eq_u32_e64 s0, 3, v21
	v_and_or_b32 v13, 0x8000, v17, v14
	v_and_b32_e32 v14, 0xffff, v15
	s_wait_alu 0xfffd
	v_cndmask_b32_e64 v0, 0, 1, vcc_lo
	v_cmp_lt_i32_e32 vcc_lo, 5, v21
	v_sub_nc_u32_e32 v15, 0x3f1, v12
	v_add_nc_u32_e32 v12, 0xfffffc10, v12
	v_lshl_or_b32 v13, v13, 16, v14
	v_lshrrev_b32_e32 v14, 2, v20
	v_and_or_b32 v0, 0xffe, v22, v0
	s_or_b32 vcc_lo, s0, vcc_lo
	v_med3_i32 v15, v15, 0, 13
	v_and_or_b32 v10, 0x1ff, v11, v10
	s_wait_alu 0xfffe
	v_add_co_ci_u32_e32 v14, vcc_lo, 0, v14, vcc_lo
	v_or_b32_e32 v17, 0x1000, v0
	v_cmp_ne_u32_e32 vcc_lo, 0, v8
	v_lshrrev_b32_e32 v21, 8, v11
	v_bfe_u32 v22, v11, 20, 11
	v_lshrrev_b32_e32 v1, 16, v1
	v_lshrrev_b32_e32 v20, v15, v17
	s_wait_alu 0xfffd
	v_cndmask_b32_e64 v8, 0, 1, vcc_lo
	v_cmp_gt_i32_e32 vcc_lo, 31, v19
	v_lshrrev_b32_e32 v11, 16, v11
	v_lshlrev_b32_e32 v15, v15, v20
	s_delay_alu instid0(VALU_DEP_4)
	v_lshl_or_b32 v8, v8, 9, 0x7c00
	s_wait_alu 0xfffd
	v_cndmask_b32_e32 v14, 0x7c00, v14, vcc_lo
	v_cmp_ne_u32_e32 vcc_lo, 0, v10
	s_wait_alu 0xfffd
	v_cndmask_b32_e64 v10, 0, 1, vcc_lo
	v_cmp_ne_u32_e32 vcc_lo, v15, v17
	v_sub_nc_u32_e32 v17, 0x3f1, v22
	v_and_or_b32 v6, 0x1ff, v7, v6
	s_delay_alu instid0(VALU_DEP_4)
	v_and_or_b32 v10, 0xffe, v21, v10
	s_wait_alu 0xfffd
	v_cndmask_b32_e64 v15, 0, 1, vcc_lo
	v_cmp_eq_u32_e32 vcc_lo, 0x40f, v19
	v_med3_i32 v17, v17, 0, 13
	v_bfe_u32 v21, v7, 20, 11
	v_or_b32_e32 v19, 0x1000, v10
	s_wait_alu 0xfffd
	v_cndmask_b32_e32 v8, v14, v8, vcc_lo
	v_or_b32_e32 v14, v20, v15
	v_lshl_or_b32 v15, v12, 12, v0
	v_cmp_gt_i32_e32 vcc_lo, 1, v12
	v_lshrrev_b32_e32 v20, 8, v7
	v_and_or_b32 v8, 0x8000, v9, v8
	v_sub_nc_u32_e32 v9, 0x3f1, v21
	v_lshrrev_b32_e32 v7, 16, v7
	s_wait_alu 0xfffd
	v_cndmask_b32_e32 v14, v15, v14, vcc_lo
	v_lshrrev_b32_e32 v15, v17, v19
	v_cmp_ne_u32_e32 vcc_lo, 0, v6
	v_med3_i32 v9, v9, 0, 13
	v_and_b32_e32 v8, 0xffff, v8
	v_and_b32_e32 v23, 7, v14
	v_lshlrev_b32_e32 v17, v17, v15
	s_wait_alu 0xfffd
	v_cndmask_b32_e64 v6, 0, 1, vcc_lo
	v_lshrrev_b32_e32 v14, 2, v14
	v_cmp_lt_i32_e32 vcc_lo, 5, v23
	v_cmp_ne_u32_e64 s0, v17, v19
	s_delay_alu instid0(VALU_DEP_4) | instskip(SKIP_2) | instid1(VALU_DEP_3)
	v_and_or_b32 v6, 0xffe, v20, v6
	v_add_nc_u32_e32 v20, 0xfffffc10, v22
	s_wait_alu 0xf1ff
	v_cndmask_b32_e64 v17, 0, 1, s0
	v_cmp_eq_u32_e64 s0, 3, v23
	v_or_b32_e32 v19, 0x1000, v6
	v_lshl_or_b32 v22, v20, 12, v10
	s_delay_alu instid0(VALU_DEP_4) | instskip(NEXT) | instid1(VALU_DEP_4)
	v_or_b32_e32 v15, v15, v17
	s_or_b32 vcc_lo, s0, vcc_lo
	s_delay_alu instid0(VALU_DEP_3) | instskip(SKIP_3) | instid1(VALU_DEP_3)
	v_lshrrev_b32_e32 v17, v9, v19
	s_wait_alu 0xfffe
	v_add_co_ci_u32_e32 v14, vcc_lo, 0, v14, vcc_lo
	v_cmp_gt_i32_e32 vcc_lo, 1, v20
	v_lshlrev_b32_e32 v9, v9, v17
	s_wait_alu 0xfffd
	v_cndmask_b32_e32 v15, v22, v15, vcc_lo
	v_cmp_ne_u32_e32 vcc_lo, 0, v0
	s_wait_alu 0xfffd
	v_cndmask_b32_e64 v0, 0, 1, vcc_lo
	v_cmp_ne_u32_e32 vcc_lo, v9, v19
	v_add_nc_u32_e32 v19, 0xfffffc10, v21
	v_and_b32_e32 v21, 7, v15
	s_delay_alu instid0(VALU_DEP_4)
	v_lshl_or_b32 v0, v0, 9, 0x7c00
	s_wait_alu 0xfffd
	v_cndmask_b32_e64 v9, 0, 1, vcc_lo
	v_cmp_gt_i32_e32 vcc_lo, 31, v12
	v_cmp_gt_i32_e64 s1, 1, v19
	v_cmp_eq_u32_e64 s0, 3, v21
	s_delay_alu instid0(VALU_DEP_4)
	v_or_b32_e32 v9, v17, v9
	v_lshl_or_b32 v17, v19, 12, v6
	s_wait_alu 0xfffd
	v_cndmask_b32_e32 v14, 0x7c00, v14, vcc_lo
	v_cmp_lt_i32_e32 vcc_lo, 5, v21
	s_wait_alu 0xf1ff
	v_cndmask_b32_e64 v9, v17, v9, s1
	v_cmp_eq_u32_e64 s1, 0x40f, v12
	v_lshrrev_b32_e32 v12, 2, v15
	s_or_b32 vcc_lo, s0, vcc_lo
	s_delay_alu instid0(VALU_DEP_2) | instskip(SKIP_1) | instid1(VALU_DEP_2)
	v_cndmask_b32_e64 v0, v14, v0, s1
	s_wait_alu 0xfffe
	v_add_co_ci_u32_e32 v12, vcc_lo, 0, v12, vcc_lo
	v_and_b32_e32 v14, 7, v9
	v_cmp_ne_u32_e32 vcc_lo, 0, v10
	v_lshrrev_b32_e32 v9, 2, v9
	v_cmp_gt_i32_e64 s1, 31, v20
	s_delay_alu instid0(VALU_DEP_4)
	v_cmp_eq_u32_e64 s0, 3, v14
	s_wait_alu 0xfffd
	v_cndmask_b32_e64 v10, 0, 1, vcc_lo
	v_cmp_lt_i32_e32 vcc_lo, 5, v14
	s_wait_alu 0xf1ff
	v_cndmask_b32_e64 v12, 0x7c00, v12, s1
	s_delay_alu instid0(VALU_DEP_3)
	v_lshl_or_b32 v10, v10, 9, 0x7c00
	s_or_b32 vcc_lo, s0, vcc_lo
	s_wait_alu 0xfffe
	v_add_co_ci_u32_e32 v9, vcc_lo, 0, v9, vcc_lo
	v_cmp_ne_u32_e32 vcc_lo, 0, v6
	s_wait_alu 0xfffd
	v_cndmask_b32_e64 v6, 0, 1, vcc_lo
	v_cmp_eq_u32_e32 vcc_lo, 0x40f, v20
	s_delay_alu instid0(VALU_DEP_2) | instskip(SKIP_4) | instid1(VALU_DEP_3)
	v_lshl_or_b32 v6, v6, 9, 0x7c00
	s_wait_alu 0xfffd
	v_cndmask_b32_e32 v10, v12, v10, vcc_lo
	v_cmp_gt_i32_e32 vcc_lo, 31, v19
	v_and_or_b32 v12, 0x8000, v1, v0
	v_and_or_b32 v10, 0x8000, v11, v10
	s_wait_alu 0xfffd
	v_cndmask_b32_e32 v9, 0x7c00, v9, vcc_lo
	v_cmp_eq_u32_e32 vcc_lo, 0x40f, v19
	v_lshl_or_b32 v11, v12, 16, v8
	s_wait_alu 0xfffd
	s_delay_alu instid0(VALU_DEP_3) | instskip(SKIP_3) | instid1(VALU_DEP_3)
	v_cndmask_b32_e32 v6, v9, v6, vcc_lo
	v_add_co_u32 v0, vcc_lo, v2, s2
	s_wait_alu 0xfffd
	v_add_co_ci_u32_e32 v1, vcc_lo, s3, v3, vcc_lo
	v_and_or_b32 v8, 0x8000, v7, v6
	v_and_b32_e32 v9, 0xffff, v10
	v_add_co_u32 v6, vcc_lo, v0, s2
	s_wait_alu 0xfffd
	v_add_co_ci_u32_e32 v7, vcc_lo, s3, v1, vcc_lo
	s_delay_alu instid0(VALU_DEP_3) | instskip(NEXT) | instid1(VALU_DEP_3)
	v_lshl_or_b32 v10, v8, 16, v9
	v_add_co_u32 v8, vcc_lo, v6, s2
	s_wait_alu 0xfffd
	s_delay_alu instid0(VALU_DEP_3)
	v_add_co_ci_u32_e32 v9, vcc_lo, s3, v7, vcc_lo
	global_store_b32 v[4:5], v16, off
	global_store_b32 v[2:3], v18, off
	;; [unrolled: 1-line block ×5, first 2 shown]
.LBB0_10:
	s_nop 0
	s_sendmsg sendmsg(MSG_DEALLOC_VGPRS)
	s_endpgm
	.section	.rodata,"a",@progbits
	.p2align	6, 0x0
	.amdhsa_kernel bluestein_single_back_len2023_dim1_half_op_CI_CI
		.amdhsa_group_segment_fixed_size 8092
		.amdhsa_private_segment_fixed_size 8
		.amdhsa_kernarg_size 104
		.amdhsa_user_sgpr_count 2
		.amdhsa_user_sgpr_dispatch_ptr 0
		.amdhsa_user_sgpr_queue_ptr 0
		.amdhsa_user_sgpr_kernarg_segment_ptr 1
		.amdhsa_user_sgpr_dispatch_id 0
		.amdhsa_user_sgpr_private_segment_size 0
		.amdhsa_wavefront_size32 1
		.amdhsa_uses_dynamic_stack 0
		.amdhsa_enable_private_segment 1
		.amdhsa_system_sgpr_workgroup_id_x 1
		.amdhsa_system_sgpr_workgroup_id_y 0
		.amdhsa_system_sgpr_workgroup_id_z 0
		.amdhsa_system_sgpr_workgroup_info 0
		.amdhsa_system_vgpr_workitem_id 0
		.amdhsa_next_free_vgpr 256
		.amdhsa_next_free_sgpr 20
		.amdhsa_reserve_vcc 1
		.amdhsa_float_round_mode_32 0
		.amdhsa_float_round_mode_16_64 0
		.amdhsa_float_denorm_mode_32 3
		.amdhsa_float_denorm_mode_16_64 3
		.amdhsa_fp16_overflow 0
		.amdhsa_workgroup_processor_mode 1
		.amdhsa_memory_ordered 1
		.amdhsa_forward_progress 0
		.amdhsa_round_robin_scheduling 0
		.amdhsa_exception_fp_ieee_invalid_op 0
		.amdhsa_exception_fp_denorm_src 0
		.amdhsa_exception_fp_ieee_div_zero 0
		.amdhsa_exception_fp_ieee_overflow 0
		.amdhsa_exception_fp_ieee_underflow 0
		.amdhsa_exception_fp_ieee_inexact 0
		.amdhsa_exception_int_div_zero 0
	.end_amdhsa_kernel
	.text
.Lfunc_end0:
	.size	bluestein_single_back_len2023_dim1_half_op_CI_CI, .Lfunc_end0-bluestein_single_back_len2023_dim1_half_op_CI_CI
                                        ; -- End function
	.section	.AMDGPU.csdata,"",@progbits
; Kernel info:
; codeLenInByte = 46468
; NumSgprs: 22
; NumVgprs: 256
; ScratchSize: 8
; MemoryBound: 0
; FloatMode: 240
; IeeeMode: 1
; LDSByteSize: 8092 bytes/workgroup (compile time only)
; SGPRBlocks: 2
; VGPRBlocks: 31
; NumSGPRsForWavesPerEU: 22
; NumVGPRsForWavesPerEU: 256
; Occupancy: 5
; WaveLimiterHint : 1
; COMPUTE_PGM_RSRC2:SCRATCH_EN: 1
; COMPUTE_PGM_RSRC2:USER_SGPR: 2
; COMPUTE_PGM_RSRC2:TRAP_HANDLER: 0
; COMPUTE_PGM_RSRC2:TGID_X_EN: 1
; COMPUTE_PGM_RSRC2:TGID_Y_EN: 0
; COMPUTE_PGM_RSRC2:TGID_Z_EN: 0
; COMPUTE_PGM_RSRC2:TIDIG_COMP_CNT: 0
	.text
	.p2alignl 7, 3214868480
	.fill 96, 4, 3214868480
	.type	__hip_cuid_4f073b50af99296e,@object ; @__hip_cuid_4f073b50af99296e
	.section	.bss,"aw",@nobits
	.globl	__hip_cuid_4f073b50af99296e
__hip_cuid_4f073b50af99296e:
	.byte	0                               ; 0x0
	.size	__hip_cuid_4f073b50af99296e, 1

	.ident	"AMD clang version 19.0.0git (https://github.com/RadeonOpenCompute/llvm-project roc-6.4.0 25133 c7fe45cf4b819c5991fe208aaa96edf142730f1d)"
	.section	".note.GNU-stack","",@progbits
	.addrsig
	.addrsig_sym __hip_cuid_4f073b50af99296e
	.amdgpu_metadata
---
amdhsa.kernels:
  - .args:
      - .actual_access:  read_only
        .address_space:  global
        .offset:         0
        .size:           8
        .value_kind:     global_buffer
      - .actual_access:  read_only
        .address_space:  global
        .offset:         8
        .size:           8
        .value_kind:     global_buffer
      - .actual_access:  read_only
        .address_space:  global
        .offset:         16
        .size:           8
        .value_kind:     global_buffer
      - .actual_access:  read_only
        .address_space:  global
        .offset:         24
        .size:           8
        .value_kind:     global_buffer
      - .actual_access:  read_only
        .address_space:  global
        .offset:         32
        .size:           8
        .value_kind:     global_buffer
      - .offset:         40
        .size:           8
        .value_kind:     by_value
      - .address_space:  global
        .offset:         48
        .size:           8
        .value_kind:     global_buffer
      - .address_space:  global
        .offset:         56
        .size:           8
        .value_kind:     global_buffer
      - .address_space:  global
        .offset:         64
        .size:           8
        .value_kind:     global_buffer
      - .address_space:  global
        .offset:         72
        .size:           8
        .value_kind:     global_buffer
      - .offset:         80
        .size:           4
        .value_kind:     by_value
      - .address_space:  global
        .offset:         88
        .size:           8
        .value_kind:     global_buffer
      - .address_space:  global
        .offset:         96
        .size:           8
        .value_kind:     global_buffer
    .group_segment_fixed_size: 8092
    .kernarg_segment_align: 8
    .kernarg_segment_size: 104
    .language:       OpenCL C
    .language_version:
      - 2
      - 0
    .max_flat_workgroup_size: 119
    .name:           bluestein_single_back_len2023_dim1_half_op_CI_CI
    .private_segment_fixed_size: 8
    .sgpr_count:     22
    .sgpr_spill_count: 0
    .symbol:         bluestein_single_back_len2023_dim1_half_op_CI_CI.kd
    .uniform_work_group_size: 1
    .uses_dynamic_stack: false
    .vgpr_count:     256
    .vgpr_spill_count: 1
    .wavefront_size: 32
    .workgroup_processor_mode: 1
amdhsa.target:   amdgcn-amd-amdhsa--gfx1201
amdhsa.version:
  - 1
  - 2
...

	.end_amdgpu_metadata
